;; amdgpu-corpus repo=ROCm/rocFFT kind=compiled arch=gfx950 opt=O3
	.text
	.amdgcn_target "amdgcn-amd-amdhsa--gfx950"
	.amdhsa_code_object_version 6
	.protected	bluestein_single_fwd_len312_dim1_sp_op_CI_CI ; -- Begin function bluestein_single_fwd_len312_dim1_sp_op_CI_CI
	.globl	bluestein_single_fwd_len312_dim1_sp_op_CI_CI
	.p2align	8
	.type	bluestein_single_fwd_len312_dim1_sp_op_CI_CI,@function
bluestein_single_fwd_len312_dim1_sp_op_CI_CI: ; @bluestein_single_fwd_len312_dim1_sp_op_CI_CI
; %bb.0:
	s_load_dwordx4 s[8:11], s[0:1], 0x28
	v_mul_u32_u24_e32 v1, 0x9d9, v0
	v_lshrrev_b32_e32 v1, 16, v1
	v_mov_b32_e32 v45, 0
	v_lshl_add_u32 v46, s2, 1, v1
	v_mov_b32_e32 v47, v45
	s_waitcnt lgkmcnt(0)
	v_cmp_gt_u64_e32 vcc, s[8:9], v[46:47]
	s_and_saveexec_b64 s[2:3], vcc
	s_cbranch_execz .LBB0_15
; %bb.1:
	s_load_dwordx2 s[2:3], s[0:1], 0x0
	s_load_dwordx2 s[8:9], s[0:1], 0x38
	v_mul_lo_u16_e32 v2, 26, v1
	v_sub_u16_e32 v44, v0, v2
	v_and_b32_e32 v0, 1, v1
	v_mov_b32_e32 v1, 0x138
	v_cmp_eq_u32_e32 vcc, 1, v0
	v_lshlrev_b32_e32 v47, 3, v44
	s_nop 0
	v_cndmask_b32_e32 v150, 0, v1, vcc
	v_cmp_gt_u16_e32 vcc, 24, v44
	v_lshlrev_b32_e32 v102, 3, v150
	s_and_saveexec_b64 s[12:13], vcc
	s_cbranch_execz .LBB0_3
; %bb.2:
	s_load_dwordx2 s[4:5], s[0:1], 0x18
	v_mov_b32_e32 v0, s10
	v_mov_b32_e32 v1, s11
	;; [unrolled: 1-line block ×3, first 2 shown]
	v_or_b32_e32 v21, 0x60, v44
	s_waitcnt lgkmcnt(0)
	s_load_dwordx4 s[4:7], s[4:5], 0x0
	v_mov_b32_e32 v40, 0x180
	global_load_dwordx2 v[10:11], v47, s[2:3]
	global_load_dwordx2 v[12:13], v47, s[2:3] offset:192
	global_load_dwordx2 v[14:15], v47, s[2:3] offset:384
	global_load_dwordx2 v[16:17], v47, s[2:3] offset:576
	v_or_b32_e32 v39, 0xc0, v44
	v_or_b32_e32 v55, 0x120, v44
	s_waitcnt lgkmcnt(0)
	v_mad_u64_u32 v[2:3], s[10:11], s6, v46, 0
	v_mad_u64_u32 v[4:5], s[10:11], s4, v44, 0
	v_mov_b32_e32 v6, v3
	v_mov_b32_e32 v8, v5
	v_mad_u64_u32 v[6:7], s[6:7], s7, v46, v[6:7]
	v_mov_b32_e32 v3, v6
	v_mad_u64_u32 v[6:7], s[6:7], s5, v44, v[8:9]
	v_mov_b32_e32 v5, v6
	v_lshl_add_u64 v[0:1], v[2:3], 3, v[0:1]
	v_lshl_add_u64 v[2:3], v[4:5], 3, v[0:1]
	v_mad_u64_u32 v[4:5], s[6:7], s4, v48, v[2:3]
	s_mul_i32 s10, s5, 0xc0
	v_add_u32_e32 v5, s10, v5
	v_mad_u64_u32 v[6:7], s[6:7], s4, v48, v[4:5]
	v_mad_u64_u32 v[18:19], s[6:7], s4, v21, 0
	v_add_u32_e32 v7, s10, v7
	v_mov_b32_e32 v20, v19
	v_mad_u64_u32 v[8:9], s[6:7], s4, v48, v[6:7]
	v_mad_u64_u32 v[20:21], s[6:7], s5, v21, v[20:21]
	v_add_u32_e32 v9, s10, v9
	v_mov_b32_e32 v19, v20
	v_lshl_add_u64 v[18:19], v[18:19], 3, v[0:1]
	global_load_dwordx2 v[20:21], v[2:3], off
	global_load_dwordx2 v[22:23], v[18:19], off
	v_mad_u64_u32 v[2:3], s[6:7], s4, v40, v[8:9]
	s_mul_i32 s11, s5, 0x180
	v_add_u32_e32 v3, s11, v3
	global_load_dwordx2 v[18:19], v[4:5], off
	global_load_dwordx2 v[24:25], v[6:7], off
	;; [unrolled: 1-line block ×4, first 2 shown]
	v_mad_u64_u32 v[2:3], s[6:7], s4, v48, v[2:3]
	v_add_u32_e32 v3, s10, v3
	global_load_dwordx2 v[4:5], v[2:3], off
	v_mad_u64_u32 v[2:3], s[6:7], s4, v48, v[2:3]
	v_add_u32_e32 v3, s10, v3
	v_mad_u64_u32 v[36:37], s[6:7], s4, v39, 0
	global_load_dwordx2 v[6:7], v[2:3], off
	global_load_dwordx2 v[8:9], v47, s[2:3] offset:768
	global_load_dwordx2 v[30:31], v47, s[2:3] offset:960
	;; [unrolled: 1-line block ×4, first 2 shown]
	v_mov_b32_e32 v38, v37
	v_mad_u64_u32 v[2:3], s[6:7], s4, v40, v[2:3]
	v_mad_u64_u32 v[38:39], s[6:7], s5, v39, v[38:39]
	v_add_u32_e32 v3, s11, v3
	v_mov_b32_e32 v37, v38
	global_load_dwordx2 v[38:39], v[2:3], off
	v_mad_u64_u32 v[2:3], s[6:7], s4, v48, v[2:3]
	v_lshl_add_u64 v[36:37], v[36:37], 3, v[0:1]
	v_add_u32_e32 v3, s10, v3
	v_mad_u64_u32 v[52:53], s[6:7], s4, v55, 0
	global_load_dwordx2 v[36:37], v[36:37], off
	s_nop 0
	global_load_dwordx2 v[40:41], v47, s[2:3] offset:1536
	global_load_dwordx2 v[42:43], v[2:3], off
	v_mad_u64_u32 v[2:3], s[6:7], s4, v48, v[2:3]
	v_mov_b32_e32 v54, v53
	v_add_u32_e32 v3, s10, v3
	v_mad_u64_u32 v[54:55], s[4:5], s5, v55, v[54:55]
	global_load_dwordx2 v[48:49], v47, s[2:3] offset:1728
	global_load_dwordx2 v[50:51], v[2:3], off
	v_mov_b32_e32 v53, v54
	global_load_dwordx2 v[2:3], v47, s[2:3] offset:1920
	global_load_dwordx2 v[56:57], v47, s[2:3] offset:2112
	v_lshl_add_u64 v[0:1], v[52:53], 3, v[0:1]
	global_load_dwordx2 v[52:53], v[0:1], off
	global_load_dwordx2 v[54:55], v47, s[2:3] offset:2304
	s_waitcnt vmcnt(21)
	v_mul_f32_e32 v0, v20, v11
	v_fma_f32 v1, v21, v10, -v0
	v_mul_f32_e32 v0, v21, v11
	v_fmac_f32_e32 v0, v20, v10
	v_lshl_add_u32 v10, v44, 3, v102
	ds_write_b64 v10, v[0:1]
	s_waitcnt vmcnt(19)
	v_mul_f32_e32 v0, v19, v13
	v_mul_f32_e32 v1, v18, v13
	s_waitcnt vmcnt(18)
	v_mul_f32_e32 v10, v25, v15
	v_mul_f32_e32 v11, v24, v15
	v_fmac_f32_e32 v0, v18, v12
	v_add_u32_e32 v20, v102, v47
	v_fma_f32 v1, v19, v12, -v1
	v_fmac_f32_e32 v10, v24, v14
	v_fma_f32 v11, v25, v14, -v11
	ds_write2_b64 v20, v[0:1], v[10:11] offset0:24 offset1:48
	s_waitcnt vmcnt(17)
	v_mul_f32_e32 v0, v27, v17
	v_mul_f32_e32 v1, v26, v17
	s_waitcnt vmcnt(13)
	v_mul_f32_e32 v10, v23, v9
	v_mul_f32_e32 v9, v22, v9
	v_fmac_f32_e32 v0, v26, v16
	v_fma_f32 v1, v27, v16, -v1
	v_fmac_f32_e32 v10, v22, v8
	v_fma_f32 v11, v23, v8, -v9
	s_waitcnt vmcnt(11)
	v_mul_f32_e32 v8, v5, v33
	ds_write2_b64 v20, v[0:1], v[10:11] offset0:72 offset1:96
	v_mul_f32_e32 v0, v29, v31
	v_mul_f32_e32 v1, v28, v31
	v_fmac_f32_e32 v8, v4, v32
	v_mul_f32_e32 v4, v4, v33
	v_fmac_f32_e32 v0, v28, v30
	v_fma_f32 v1, v29, v30, -v1
	v_fma_f32 v9, v5, v32, -v4
	ds_write2_b64 v20, v[0:1], v[8:9] offset0:120 offset1:144
	s_waitcnt vmcnt(10)
	v_mul_f32_e32 v0, v7, v35
	v_mul_f32_e32 v1, v6, v35
	s_waitcnt vmcnt(7)
	v_mul_f32_e32 v4, v37, v41
	v_mul_f32_e32 v5, v36, v41
	v_fmac_f32_e32 v0, v6, v34
	v_fma_f32 v1, v7, v34, -v1
	v_fmac_f32_e32 v4, v36, v40
	v_fma_f32 v5, v37, v40, -v5
	ds_write2_b64 v20, v[0:1], v[4:5] offset0:168 offset1:192
	s_waitcnt vmcnt(5)
	v_mul_f32_e32 v0, v39, v49
	v_mul_f32_e32 v1, v38, v49
	s_waitcnt vmcnt(3)
	v_mul_f32_e32 v4, v43, v3
	v_mul_f32_e32 v3, v42, v3
	v_fmac_f32_e32 v0, v38, v48
	v_fma_f32 v1, v39, v48, -v1
	v_fmac_f32_e32 v4, v42, v2
	;; [unrolled: 11-line block ×3, first 2 shown]
	v_fma_f32 v3, v53, v54, -v3
	v_add_u32_e32 v4, 0x800, v20
	ds_write2_b64 v4, v[0:1], v[2:3] offset0:8 offset1:32
.LBB0_3:
	s_or_b64 exec, exec, s[12:13]
	s_load_dwordx2 s[4:5], s[0:1], 0x20
	s_load_dwordx2 s[10:11], s[0:1], 0x8
	v_mov_b64_e32 v[0:1], 0
	s_waitcnt lgkmcnt(0)
	; wave barrier
	s_waitcnt lgkmcnt(0)
                                        ; implicit-def: $vgpr6
                                        ; implicit-def: $vgpr8
                                        ; implicit-def: $vgpr14
                                        ; implicit-def: $vgpr20
                                        ; implicit-def: $vgpr18
                                        ; implicit-def: $vgpr40
	s_and_saveexec_b64 s[0:1], vcc
	s_cbranch_execz .LBB0_5
; %bb.4:
	v_lshl_add_u32 v24, v150, 3, v47
	ds_read2_b64 v[0:3], v24 offset1:24
	ds_read2_b64 v[16:19], v24 offset0:48 offset1:72
	ds_read2_b64 v[12:15], v24 offset0:96 offset1:120
	;; [unrolled: 1-line block ×4, first 2 shown]
	v_add_u32_e32 v20, 0x400, v24
	ds_read2_b64 v[20:23], v20 offset0:112 offset1:136
	ds_read_b64 v[40:41], v24 offset:2304
.LBB0_5:
	s_or_b64 exec, exec, s[0:1]
	s_waitcnt lgkmcnt(0)
	v_pk_add_f32 v[38:39], v[2:3], v[40:41] neg_lo:[0,1] neg_hi:[0,1]
	s_mov_b32 s0, 0xbeedf032
	v_pk_add_f32 v[36:37], v[40:41], v[2:3]
	v_pk_add_f32 v[34:35], v[16:17], v[22:23] neg_lo:[0,1] neg_hi:[0,1]
	s_mov_b32 s14, 0x3f62ad3f
	v_pk_mul_f32 v[42:43], v[38:39], s[0:1] op_sel_hi:[1,0]
	s_mov_b32 s24, 0xbf52af12
	v_pk_add_f32 v[32:33], v[22:23], v[16:17]
	v_pk_fma_f32 v[56:57], v[36:37], s[14:15], v[42:43] op_sel:[0,0,1] op_sel_hi:[1,0,0]
	v_pk_fma_f32 v[58:59], v[36:37], s[14:15], v[42:43] op_sel:[0,0,1] op_sel_hi:[1,0,0] neg_lo:[0,0,1] neg_hi:[0,0,1]
	s_mov_b32 s12, 0x3f116cb1
	v_pk_mul_f32 v[48:49], v[34:35], s[24:25] op_sel_hi:[1,0]
	v_mov_b32_e32 v42, v56
	v_mov_b32_e32 v43, v59
	v_pk_fma_f32 v[60:61], v[32:33], s[12:13], v[48:49] op_sel:[0,0,1] op_sel_hi:[1,0,0]
	v_pk_fma_f32 v[62:63], v[32:33], s[12:13], v[48:49] op_sel:[0,0,1] op_sel_hi:[1,0,0] neg_lo:[0,0,1] neg_hi:[0,0,1]
	v_pk_add_f32 v[30:31], v[18:19], v[20:21] neg_lo:[0,1] neg_hi:[0,1]
	v_pk_add_f32 v[42:43], v[42:43], v[0:1]
	v_mov_b32_e32 v48, v60
	v_mov_b32_e32 v49, v63
	s_mov_b32 s30, 0xbf7e222b
	v_pk_add_f32 v[28:29], v[20:21], v[18:19]
	v_pk_add_f32 v[42:43], v[48:49], v[42:43]
	s_mov_b32 s6, 0x3df6dbef
	v_pk_mul_f32 v[48:49], v[30:31], s[30:31] op_sel_hi:[1,0]
	v_pk_add_f32 v[26:27], v[12:13], v[10:11] neg_lo:[0,1] neg_hi:[0,1]
	v_pk_fma_f32 v[64:65], v[28:29], s[6:7], v[48:49] op_sel:[0,0,1] op_sel_hi:[1,0,0]
	v_pk_fma_f32 v[66:67], v[28:29], s[6:7], v[48:49] op_sel:[0,0,1] op_sel_hi:[1,0,0] neg_lo:[0,0,1] neg_hi:[0,0,1]
	v_mov_b32_e32 v48, v64
	v_mov_b32_e32 v49, v67
	s_mov_b32 s18, 0xbf6f5d39
	v_pk_add_f32 v[24:25], v[10:11], v[12:13]
	v_pk_add_f32 v[42:43], v[48:49], v[42:43]
	s_mov_b32 s16, 0xbeb58ec6
	v_pk_mul_f32 v[48:49], v[26:27], s[18:19] op_sel_hi:[1,0]
	s_mov_b32 s22, 0xbf29c268
	v_pk_fma_f32 v[68:69], v[24:25], s[16:17], v[48:49] op_sel:[0,0,1] op_sel_hi:[1,0,0]
	v_pk_fma_f32 v[70:71], v[24:25], s[16:17], v[48:49] op_sel:[0,0,1] op_sel_hi:[1,0,0] neg_lo:[0,0,1] neg_hi:[0,0,1]
	v_mov_b32_e32 v48, v68
	v_mov_b32_e32 v49, v71
	v_pk_add_f32 v[50:51], v[48:49], v[42:43]
	v_pk_add_f32 v[48:49], v[14:15], v[8:9] neg_lo:[0,1] neg_hi:[0,1]
	s_mov_b32 s20, 0xbf3f9e67
	v_pk_add_f32 v[42:43], v[8:9], v[14:15]
	v_pk_mul_f32 v[52:53], v[48:49], s[22:23] op_sel_hi:[1,0]
	s_mov_b32 s28, 0xbe750f2a
	v_pk_fma_f32 v[72:73], v[42:43], s[20:21], v[52:53] op_sel:[0,0,1] op_sel_hi:[1,0,0]
	v_pk_fma_f32 v[74:75], v[42:43], s[20:21], v[52:53] op_sel:[0,0,1] op_sel_hi:[1,0,0] neg_lo:[0,0,1] neg_hi:[0,0,1]
	v_mov_b32_e32 v52, v72
	v_mov_b32_e32 v53, v75
	v_pk_add_f32 v[54:55], v[52:53], v[50:51]
	v_pk_add_f32 v[52:53], v[4:5], v[6:7] neg_lo:[0,1] neg_hi:[0,1]
	s_mov_b32 s26, 0xbf788fa5
	v_pk_add_f32 v[50:51], v[6:7], v[4:5]
	v_pk_mul_f32 v[78:79], v[52:53], s[28:29] op_sel_hi:[1,0]
	v_mul_lo_u16_e32 v103, 13, v44
	v_pk_fma_f32 v[76:77], v[50:51], s[26:27], v[78:79] op_sel:[0,0,1] op_sel_hi:[1,0,0]
	v_pk_fma_f32 v[78:79], v[50:51], s[26:27], v[78:79] op_sel:[0,0,1] op_sel_hi:[1,0,0] neg_lo:[0,0,1] neg_hi:[0,0,1]
	v_mov_b32_e32 v80, v76
	v_mov_b32_e32 v81, v79
	v_pk_add_f32 v[54:55], v[80:81], v[54:55]
	s_waitcnt lgkmcnt(0)
	; wave barrier
	s_and_saveexec_b64 s[0:1], vcc
	s_cbranch_execz .LBB0_7
; %bb.6:
	v_pk_add_f32 v[2:3], v[2:3], v[0:1]
	v_mov_b32_e32 v59, v57
	v_pk_add_f32 v[2:3], v[16:17], v[2:3]
	v_mov_b32_e32 v63, v61
	;; [unrolled: 2-line block ×5, first 2 shown]
	v_pk_add_f32 v[2:3], v[4:5], v[2:3]
	v_pk_add_f32 v[4:5], v[58:59], v[0:1]
	;; [unrolled: 1-line block ×11, first 2 shown]
	v_mov_b32_e32 v79, v77
	v_add_lshl_u32 v136, v150, v103, 3
	v_pk_add_f32 v[2:3], v[40:41], v[2:3]
	v_pk_add_f32 v[4:5], v[78:79], v[4:5]
	ds_write2_b64 v136, v[2:3], v[4:5] offset1:1
	v_pk_mul_f32 v[4:5], v[38:39], s[24:25] op_sel_hi:[1,0]
	v_pk_mul_f32 v[8:9], v[34:35], s[18:19] op_sel_hi:[1,0]
	v_pk_fma_f32 v[2:3], v[36:37], s[12:13], v[4:5] op_sel:[0,0,1] op_sel_hi:[1,0,0] neg_lo:[0,0,1] neg_hi:[0,0,1]
	v_pk_fma_f32 v[4:5], v[36:37], s[12:13], v[4:5] op_sel:[0,0,1] op_sel_hi:[1,0,0]
	v_mov_b32_e32 v6, v2
	v_mov_b32_e32 v7, v5
	v_pk_add_f32 v[10:11], v[6:7], v[0:1]
	v_pk_fma_f32 v[6:7], v[32:33], s[16:17], v[8:9] op_sel:[0,0,1] op_sel_hi:[1,0,0] neg_lo:[0,0,1] neg_hi:[0,0,1]
	v_pk_fma_f32 v[8:9], v[32:33], s[16:17], v[8:9] op_sel:[0,0,1] op_sel_hi:[1,0,0]
	v_mov_b32_e32 v12, v6
	v_mov_b32_e32 v13, v9
	v_pk_add_f32 v[14:15], v[12:13], v[10:11]
	v_pk_mul_f32 v[12:13], v[30:31], s[28:29] op_sel_hi:[1,0]
	s_mov_b32 s38, 0x3f29c268
	v_pk_fma_f32 v[10:11], v[28:29], s[26:27], v[12:13] op_sel:[0,0,1] op_sel_hi:[1,0,0] neg_lo:[0,0,1] neg_hi:[0,0,1]
	v_pk_fma_f32 v[12:13], v[28:29], s[26:27], v[12:13] op_sel:[0,0,1] op_sel_hi:[1,0,0]
	v_mov_b32_e32 v16, v10
	v_mov_b32_e32 v17, v13
	v_pk_add_f32 v[18:19], v[16:17], v[14:15]
	v_pk_mul_f32 v[16:17], v[26:27], s[38:39] op_sel_hi:[1,0]
	s_mov_b32 s34, 0x3f7e222b
	;; [unrolled: 7-line block ×3, first 2 shown]
	v_pk_fma_f32 v[18:19], v[42:43], s[6:7], v[20:21] op_sel:[0,0,1] op_sel_hi:[1,0,0] neg_lo:[0,0,1] neg_hi:[0,0,1]
	v_pk_fma_f32 v[20:21], v[42:43], s[6:7], v[20:21] op_sel:[0,0,1] op_sel_hi:[1,0,0]
	v_mov_b32_e32 v40, v18
	v_mov_b32_e32 v41, v21
	v_pk_add_f32 v[56:57], v[40:41], v[22:23]
	v_pk_mul_f32 v[40:41], v[52:53], s[36:37] op_sel_hi:[1,0]
	v_pk_mul_f32 v[60:61], v[34:35], s[28:29] op_sel_hi:[1,0]
	v_pk_fma_f32 v[22:23], v[50:51], s[14:15], v[40:41] op_sel:[0,0,1] op_sel_hi:[1,0,0] neg_lo:[0,0,1] neg_hi:[0,0,1]
	v_pk_fma_f32 v[40:41], v[50:51], s[14:15], v[40:41] op_sel:[0,0,1] op_sel_hi:[1,0,0]
	v_mov_b32_e32 v58, v22
	v_mov_b32_e32 v59, v41
	v_pk_add_f32 v[56:57], v[58:59], v[56:57]
	v_pk_mul_f32 v[58:59], v[38:39], s[30:31] op_sel_hi:[1,0]
	s_mov_b32 s40, 0x3f6f5d39
	v_pk_fma_f32 v[64:65], v[36:37], s[6:7], v[58:59] op_sel:[0,0,1] op_sel_hi:[1,0,0] neg_lo:[0,0,1] neg_hi:[0,0,1]
	v_pk_fma_f32 v[58:59], v[36:37], s[6:7], v[58:59] op_sel:[0,0,1] op_sel_hi:[1,0,0]
	v_mov_b32_e32 v66, v64
	v_mov_b32_e32 v67, v59
	v_pk_fma_f32 v[68:69], v[32:33], s[26:27], v[60:61] op_sel:[0,0,1] op_sel_hi:[1,0,0] neg_lo:[0,0,1] neg_hi:[0,0,1]
	v_pk_fma_f32 v[60:61], v[32:33], s[26:27], v[60:61] op_sel:[0,0,1] op_sel_hi:[1,0,0]
	v_pk_mul_f32 v[62:63], v[30:31], s[40:41] op_sel_hi:[1,0]
	v_pk_add_f32 v[66:67], v[66:67], v[0:1]
	v_mov_b32_e32 v70, v68
	v_mov_b32_e32 v71, v61
	v_pk_add_f32 v[66:67], v[70:71], v[66:67]
	v_pk_fma_f32 v[70:71], v[28:29], s[16:17], v[62:63] op_sel:[0,0,1] op_sel_hi:[1,0,0] neg_lo:[0,0,1] neg_hi:[0,0,1]
	v_pk_fma_f32 v[62:63], v[28:29], s[16:17], v[62:63] op_sel:[0,0,1] op_sel_hi:[1,0,0]
	v_mov_b32_e32 v72, v70
	v_mov_b32_e32 v73, v63
	v_pk_add_f32 v[66:67], v[72:73], v[66:67]
	v_pk_mul_f32 v[72:73], v[26:27], s[36:37] op_sel_hi:[1,0]
	v_pk_mul_f32 v[86:87], v[34:35], s[38:39] op_sel_hi:[1,0]
	v_pk_fma_f32 v[74:75], v[24:25], s[14:15], v[72:73] op_sel:[0,0,1] op_sel_hi:[1,0,0] neg_lo:[0,0,1] neg_hi:[0,0,1]
	v_pk_fma_f32 v[72:73], v[24:25], s[14:15], v[72:73] op_sel:[0,0,1] op_sel_hi:[1,0,0]
	v_mov_b32_e32 v76, v74
	v_mov_b32_e32 v77, v73
	v_pk_add_f32 v[66:67], v[76:77], v[66:67]
	v_pk_mul_f32 v[76:77], v[48:49], s[24:25] op_sel_hi:[1,0]
	v_pk_fma_f32 v[88:89], v[32:33], s[20:21], v[86:87] op_sel:[0,0,1] op_sel_hi:[1,0,0] neg_lo:[0,0,1] neg_hi:[0,0,1]
	v_pk_fma_f32 v[78:79], v[42:43], s[12:13], v[76:77] op_sel:[0,0,1] op_sel_hi:[1,0,0] neg_lo:[0,0,1] neg_hi:[0,0,1]
	v_pk_fma_f32 v[76:77], v[42:43], s[12:13], v[76:77] op_sel:[0,0,1] op_sel_hi:[1,0,0]
	v_mov_b32_e32 v80, v78
	v_mov_b32_e32 v81, v77
	v_pk_add_f32 v[66:67], v[80:81], v[66:67]
	v_pk_mul_f32 v[80:81], v[52:53], s[22:23] op_sel_hi:[1,0]
	v_pk_fma_f32 v[86:87], v[32:33], s[20:21], v[86:87] op_sel:[0,0,1] op_sel_hi:[1,0,0]
	v_pk_fma_f32 v[82:83], v[50:51], s[20:21], v[80:81] op_sel:[0,0,1] op_sel_hi:[1,0,0] neg_lo:[0,0,1] neg_hi:[0,0,1]
	v_pk_fma_f32 v[80:81], v[50:51], s[20:21], v[80:81] op_sel:[0,0,1] op_sel_hi:[1,0,0]
	v_mov_b32_e32 v84, v82
	v_mov_b32_e32 v85, v81
	v_pk_add_f32 v[66:67], v[84:85], v[66:67]
	ds_write2_b64 v136, v[56:57], v[66:67] offset0:2 offset1:3
	v_pk_mul_f32 v[56:57], v[38:39], s[18:19] op_sel_hi:[1,0]
	v_mov_b32_e32 v90, v88
	v_pk_fma_f32 v[66:67], v[36:37], s[16:17], v[56:57] op_sel:[0,0,1] op_sel_hi:[1,0,0] neg_lo:[0,0,1] neg_hi:[0,0,1]
	v_pk_fma_f32 v[56:57], v[36:37], s[16:17], v[56:57] op_sel:[0,0,1] op_sel_hi:[1,0,0]
	v_mov_b32_e32 v84, v66
	v_mov_b32_e32 v85, v57
	v_pk_add_f32 v[84:85], v[84:85], v[0:1]
	v_mov_b32_e32 v91, v87
	v_pk_add_f32 v[84:85], v[90:91], v[84:85]
	v_pk_mul_f32 v[90:91], v[30:31], s[36:37] op_sel_hi:[1,0]
	s_mov_b32 s38, 0x3f52af12
	v_pk_fma_f32 v[92:93], v[28:29], s[14:15], v[90:91] op_sel:[0,0,1] op_sel_hi:[1,0,0] neg_lo:[0,0,1] neg_hi:[0,0,1]
	v_pk_fma_f32 v[90:91], v[28:29], s[14:15], v[90:91] op_sel:[0,0,1] op_sel_hi:[1,0,0]
	v_mov_b32_e32 v94, v92
	v_mov_b32_e32 v95, v91
	v_pk_add_f32 v[84:85], v[94:95], v[84:85]
	v_pk_mul_f32 v[94:95], v[26:27], s[30:31] op_sel_hi:[1,0]
	s_mov_b32 s30, 0x3e750f2a
	v_pk_fma_f32 v[96:97], v[24:25], s[6:7], v[94:95] op_sel:[0,0,1] op_sel_hi:[1,0,0] neg_lo:[0,0,1] neg_hi:[0,0,1]
	v_pk_fma_f32 v[94:95], v[24:25], s[6:7], v[94:95] op_sel:[0,0,1] op_sel_hi:[1,0,0]
	v_mov_b32_e32 v98, v96
	v_mov_b32_e32 v99, v95
	v_pk_add_f32 v[84:85], v[98:99], v[84:85]
	v_pk_mul_f32 v[98:99], v[48:49], s[30:31] op_sel_hi:[1,0]
	v_pk_mul_f32 v[114:115], v[34:35], s[34:35] op_sel_hi:[1,0]
	v_pk_fma_f32 v[100:101], v[42:43], s[26:27], v[98:99] op_sel:[0,0,1] op_sel_hi:[1,0,0] neg_lo:[0,0,1] neg_hi:[0,0,1]
	v_pk_fma_f32 v[98:99], v[42:43], s[26:27], v[98:99] op_sel:[0,0,1] op_sel_hi:[1,0,0]
	v_mov_b32_e32 v104, v100
	v_mov_b32_e32 v105, v99
	v_pk_add_f32 v[84:85], v[104:105], v[84:85]
	v_pk_mul_f32 v[104:105], v[52:53], s[38:39] op_sel_hi:[1,0]
	v_pk_fma_f32 v[116:117], v[32:33], s[6:7], v[114:115] op_sel:[0,0,1] op_sel_hi:[1,0,0] neg_lo:[0,0,1] neg_hi:[0,0,1]
	v_pk_fma_f32 v[106:107], v[50:51], s[12:13], v[104:105] op_sel:[0,0,1] op_sel_hi:[1,0,0] neg_lo:[0,0,1] neg_hi:[0,0,1]
	v_pk_fma_f32 v[104:105], v[50:51], s[12:13], v[104:105] op_sel:[0,0,1] op_sel_hi:[1,0,0]
	v_mov_b32_e32 v108, v106
	v_mov_b32_e32 v109, v105
	v_pk_add_f32 v[84:85], v[108:109], v[84:85]
	v_pk_mul_f32 v[108:109], v[38:39], s[22:23] op_sel_hi:[1,0]
	v_pk_fma_f32 v[114:115], v[32:33], s[6:7], v[114:115] op_sel:[0,0,1] op_sel_hi:[1,0,0]
	v_pk_fma_f32 v[110:111], v[36:37], s[20:21], v[108:109] op_sel:[0,0,1] op_sel_hi:[1,0,0] neg_lo:[0,0,1] neg_hi:[0,0,1]
	v_pk_fma_f32 v[108:109], v[36:37], s[20:21], v[108:109] op_sel:[0,0,1] op_sel_hi:[1,0,0]
	v_mov_b32_e32 v112, v110
	v_mov_b32_e32 v113, v109
	v_pk_add_f32 v[112:113], v[112:113], v[0:1]
	v_mov_b32_e32 v118, v116
	v_mov_b32_e32 v119, v115
	v_pk_add_f32 v[112:113], v[118:119], v[112:113]
	v_pk_mul_f32 v[118:119], v[30:31], s[24:25] op_sel_hi:[1,0]
	v_pk_mul_f32 v[38:39], v[38:39], s[28:29] op_sel_hi:[1,0]
	v_pk_fma_f32 v[120:121], v[28:29], s[12:13], v[118:119] op_sel:[0,0,1] op_sel_hi:[1,0,0] neg_lo:[0,0,1] neg_hi:[0,0,1]
	v_pk_fma_f32 v[118:119], v[28:29], s[12:13], v[118:119] op_sel:[0,0,1] op_sel_hi:[1,0,0]
	v_mov_b32_e32 v122, v120
	v_mov_b32_e32 v123, v119
	v_pk_add_f32 v[112:113], v[122:123], v[112:113]
	v_pk_mul_f32 v[122:123], v[26:27], s[30:31] op_sel_hi:[1,0]
	v_pk_mul_f32 v[34:35], v[34:35], s[36:37] op_sel_hi:[1,0]
	v_pk_fma_f32 v[124:125], v[24:25], s[26:27], v[122:123] op_sel:[0,0,1] op_sel_hi:[1,0,0] neg_lo:[0,0,1] neg_hi:[0,0,1]
	v_pk_fma_f32 v[122:123], v[24:25], s[26:27], v[122:123] op_sel:[0,0,1] op_sel_hi:[1,0,0]
	;; [unrolled: 7-line block ×4, first 2 shown]
	v_mov_b32_e32 v134, v132
	v_mov_b32_e32 v135, v131
	v_pk_add_f32 v[112:113], v[134:135], v[112:113]
	ds_write2_b64 v136, v[84:85], v[112:113] offset0:4 offset1:5
	v_pk_fma_f32 v[84:85], v[36:37], s[26:27], v[38:39] op_sel:[0,0,1] op_sel_hi:[1,0,0] neg_lo:[0,0,1] neg_hi:[0,0,1]
	v_pk_fma_f32 v[36:37], v[36:37], s[26:27], v[38:39] op_sel:[0,0,1] op_sel_hi:[1,0,0]
	v_pk_fma_f32 v[38:39], v[32:33], s[14:15], v[34:35] op_sel:[0,0,1] op_sel_hi:[1,0,0] neg_lo:[0,0,1] neg_hi:[0,0,1]
	v_pk_fma_f32 v[32:33], v[32:33], s[14:15], v[34:35] op_sel:[0,0,1] op_sel_hi:[1,0,0]
	v_mov_b32_e32 v34, v84
	v_mov_b32_e32 v35, v37
	v_pk_add_f32 v[34:35], v[34:35], v[0:1]
	v_mov_b32_e32 v112, v38
	v_mov_b32_e32 v113, v33
	v_pk_add_f32 v[34:35], v[112:113], v[34:35]
	v_pk_fma_f32 v[112:113], v[28:29], s[20:21], v[30:31] op_sel:[0,0,1] op_sel_hi:[1,0,0] neg_lo:[0,0,1] neg_hi:[0,0,1]
	v_pk_fma_f32 v[28:29], v[28:29], s[20:21], v[30:31] op_sel:[0,0,1] op_sel_hi:[1,0,0]
	v_mov_b32_e32 v30, v112
	v_mov_b32_e32 v31, v29
	v_pk_add_f32 v[30:31], v[30:31], v[34:35]
	v_pk_fma_f32 v[34:35], v[24:25], s[12:13], v[26:27] op_sel:[0,0,1] op_sel_hi:[1,0,0] neg_lo:[0,0,1] neg_hi:[0,0,1]
	v_pk_fma_f32 v[24:25], v[24:25], s[12:13], v[26:27] op_sel:[0,0,1] op_sel_hi:[1,0,0]
	v_mov_b32_e32 v26, v34
	v_mov_b32_e32 v27, v25
	v_pk_add_f32 v[26:27], v[26:27], v[30:31]
	v_pk_mul_f32 v[30:31], v[48:49], s[18:19] op_sel_hi:[1,0]
	v_mov_b32_e32 v37, v85
	v_pk_fma_f32 v[48:49], v[42:43], s[16:17], v[30:31] op_sel:[0,0,1] op_sel_hi:[1,0,0] neg_lo:[0,0,1] neg_hi:[0,0,1]
	v_pk_fma_f32 v[30:31], v[42:43], s[16:17], v[30:31] op_sel:[0,0,1] op_sel_hi:[1,0,0]
	v_mov_b32_e32 v33, v39
	v_pk_add_f32 v[36:37], v[36:37], v[0:1]
	v_mov_b32_e32 v42, v48
	v_mov_b32_e32 v43, v31
	v_pk_add_f32 v[32:33], v[32:33], v[36:37]
	v_mov_b32_e32 v29, v113
	v_pk_add_f32 v[26:27], v[42:43], v[26:27]
	v_pk_mul_f32 v[42:43], v[52:53], s[34:35] op_sel_hi:[1,0]
	v_pk_add_f32 v[28:29], v[28:29], v[32:33]
	v_mov_b32_e32 v25, v35
	v_pk_fma_f32 v[52:53], v[50:51], s[6:7], v[42:43] op_sel:[0,0,1] op_sel_hi:[1,0,0] neg_lo:[0,0,1] neg_hi:[0,0,1]
	v_pk_fma_f32 v[42:43], v[50:51], s[6:7], v[42:43] op_sel:[0,0,1] op_sel_hi:[1,0,0]
	v_pk_add_f32 v[24:25], v[24:25], v[28:29]
	v_mov_b32_e32 v31, v49
	v_mov_b32_e32 v50, v52
	;; [unrolled: 1-line block ×3, first 2 shown]
	v_pk_add_f32 v[24:25], v[30:31], v[24:25]
	v_mov_b32_e32 v43, v53
	v_pk_add_f32 v[26:27], v[50:51], v[26:27]
	v_pk_add_f32 v[24:25], v[42:43], v[24:25]
	v_mov_b32_e32 v109, v111
	v_mov_b32_e32 v57, v67
	ds_write2_b64 v136, v[26:27], v[24:25] offset0:6 offset1:7
	v_mov_b32_e32 v115, v117
	v_pk_add_f32 v[24:25], v[108:109], v[0:1]
	v_mov_b32_e32 v87, v89
	v_pk_add_f32 v[26:27], v[56:57], v[0:1]
	v_pk_add_f32 v[24:25], v[114:115], v[24:25]
	v_mov_b32_e32 v119, v121
	v_pk_add_f32 v[26:27], v[86:87], v[26:27]
	v_mov_b32_e32 v91, v93
	;; [unrolled: 2-line block ×8, first 2 shown]
	v_pk_add_f32 v[24:25], v[130:131], v[24:25]
	v_pk_add_f32 v[26:27], v[104:105], v[26:27]
	v_mov_b32_e32 v59, v65
	v_mov_b32_e32 v5, v3
	ds_write2_b64 v136, v[24:25], v[26:27] offset0:8 offset1:9
	v_pk_add_f32 v[24:25], v[58:59], v[0:1]
	v_mov_b32_e32 v61, v69
	v_pk_add_f32 v[0:1], v[4:5], v[0:1]
	v_mov_b32_e32 v9, v7
	;; [unrolled: 2-line block ×10, first 2 shown]
	v_pk_add_f32 v[24:25], v[80:81], v[24:25]
	v_pk_add_f32 v[0:1], v[40:41], v[0:1]
	ds_write2_b64 v136, v[24:25], v[0:1] offset0:10 offset1:11
	ds_write_b64 v136, v[54:55] offset:96
.LBB0_7:
	s_or_b64 exec, exec, s[0:1]
	v_add_u32_e32 v0, -13, v44
	v_cmp_gt_u16_e64 s[0:1], 13, v44
	v_lshl_add_u64 v[36:37], v[44:45], 0, 26
	s_load_dwordx4 s[4:7], s[4:5], 0x0
	v_cndmask_b32_e64 v32, v0, v44, s[0:1]
	s_movk_i32 s0, 0x4f
	v_mul_lo_u16_sdwa v4, v36, s0 dst_sel:DWORD dst_unused:UNUSED_PAD src0_sel:BYTE_0 src1_sel:DWORD
	v_lshrrev_b16_e32 v37, 10, v4
	v_mul_lo_u16_e32 v4, 13, v37
	v_sub_u16_e32 v4, v36, v4
	v_and_b32_e32 v38, 0xff, v4
	v_add_u16_e32 v4, 52, v44
	v_mul_lo_u16_sdwa v5, v4, s0 dst_sel:DWORD dst_unused:UNUSED_PAD src0_sel:BYTE_0 src1_sel:DWORD
	v_mul_hi_i32_i24_e32 v1, 24, v32
	v_mul_i32_i24_e32 v0, 24, v32
	v_lshrrev_b16_e32 v39, 10, v5
	v_lshl_add_u64 v[12:13], s[10:11], 0, v[0:1]
	v_mul_lo_u16_e32 v5, 13, v39
	s_waitcnt lgkmcnt(0)
	; wave barrier
	s_waitcnt lgkmcnt(0)
	global_load_dwordx4 v[0:3], v[12:13], off
	v_sub_u16_e32 v4, v4, v5
	v_and_b32_e32 v40, 0xff, v4
	v_mad_u64_u32 v[4:5], s[0:1], v40, 24, s[10:11]
	v_mad_u64_u32 v[14:15], s[0:1], v38, 24, s[10:11]
	global_load_dwordx2 v[52:53], v[4:5], off offset:16
	global_load_dwordx4 v[8:11], v[4:5], off
	s_nop 0
	global_load_dwordx4 v[4:7], v[14:15], off
	global_load_dwordx2 v[50:51], v[14:15], off offset:16
	global_load_dwordx2 v[48:49], v[12:13], off offset:16
	v_add_lshl_u32 v45, v150, v44, 3
	ds_read2_b64 v[12:15], v45 offset0:52 offset1:78
	ds_read2_b64 v[16:19], v45 offset0:104 offset1:130
	;; [unrolled: 1-line block ×3, first 2 shown]
	ds_read2_b64 v[24:27], v45 offset1:26
	ds_read2_b64 v[28:31], v45 offset0:156 offset1:182
	v_cmp_lt_u16_e64 s[0:1], 12, v44
	v_mul_u32_u24_e32 v37, 52, v37
	v_mul_u32_u24_e32 v39, 52, v39
	v_cndmask_b32_e64 v33, 0, 52, s[0:1]
	v_add_u32_e32 v76, 0x800, v45
	v_add_u32_e32 v37, v37, v38
	;; [unrolled: 1-line block ×4, first 2 shown]
	ds_read2_b64 v[32:35], v76 offset0:4 offset1:30
	v_add_lshl_u32 v152, v150, v38, 3
	v_add_lshl_u32 v154, v150, v41, 3
	s_waitcnt lgkmcnt(0)
	; wave barrier
	s_waitcnt lgkmcnt(0)
	v_add_lshl_u32 v153, v150, v37, 3
	s_mov_b32 s0, 0x3f5db3d7
	v_lshlrev_b32_e32 v151, 3, v44
	v_lshl_add_u32 v155, v44, 3, v102
	v_add_u32_e32 v104, v151, v102
	s_waitcnt vmcnt(5)
	v_pk_mul_f32 v[38:39], v[14:15], v[0:1] op_sel:[0,1]
	v_mov_b32_e32 v40, v3
	v_pk_fma_f32 v[42:43], v[14:15], v[0:1], v[38:39] op_sel:[0,0,1] op_sel_hi:[1,1,0] neg_lo:[0,0,1] neg_hi:[0,0,1]
	v_pk_fma_f32 v[14:15], v[14:15], v[0:1], v[38:39] op_sel:[0,0,1] op_sel_hi:[1,0,0]
	v_pk_mul_f32 v[38:39], v[28:29], v[40:41] op_sel_hi:[1,0]
	v_mov_b32_e32 v43, v15
	v_pk_fma_f32 v[14:15], v[28:29], v[2:3], v[38:39] op_sel:[0,0,1] op_sel_hi:[1,1,0] neg_lo:[0,0,1] neg_hi:[0,0,1]
	v_pk_fma_f32 v[28:29], v[28:29], v[2:3], v[38:39] op_sel:[0,0,1] op_sel_hi:[1,0,0]
	s_waitcnt vmcnt(3)
	v_pk_mul_f32 v[40:41], v[18:19], v[8:9] op_sel:[0,1]
	v_mov_b32_e32 v15, v29
	s_waitcnt vmcnt(0)
	v_pk_mul_f32 v[28:29], v[22:23], v[48:49] op_sel:[0,1]
	v_mov_b32_e32 v56, v11
	v_pk_fma_f32 v[38:39], v[22:23], v[48:49], v[28:29] op_sel:[0,0,1] op_sel_hi:[1,1,0] neg_lo:[0,0,1] neg_hi:[0,0,1]
	v_pk_fma_f32 v[22:23], v[22:23], v[48:49], v[28:29] op_sel:[0,0,1] op_sel_hi:[1,0,0]
	v_pk_mul_f32 v[58:59], v[34:35], v[52:53] op_sel:[0,1]
	v_pk_mul_f32 v[60:61], v[16:17], v[4:5] op_sel:[0,1]
	v_mov_b32_e32 v62, v7
	v_mov_b32_e32 v39, v23
	v_pk_add_f32 v[14:15], v[24:25], v[14:15] neg_lo:[0,1] neg_hi:[0,1]
	v_pk_mul_f32 v[64:65], v[32:33], v[50:51] op_sel:[0,1]
	v_pk_fma_f32 v[66:67], v[18:19], v[8:9], v[40:41] op_sel:[0,0,1] op_sel_hi:[1,1,0] neg_lo:[0,0,1] neg_hi:[0,0,1]
	v_pk_fma_f32 v[18:19], v[18:19], v[8:9], v[40:41] op_sel:[0,0,1] op_sel_hi:[1,0,0]
	v_pk_mul_f32 v[40:41], v[20:21], v[56:57] op_sel_hi:[1,0]
	v_pk_fma_f32 v[56:57], v[34:35], v[52:53], v[58:59] op_sel:[0,0,1] op_sel_hi:[1,1,0] neg_lo:[0,0,1] neg_hi:[0,0,1]
	v_pk_fma_f32 v[34:35], v[34:35], v[52:53], v[58:59] op_sel:[0,0,1] op_sel_hi:[1,0,0]
	v_pk_fma_f32 v[58:59], v[16:17], v[4:5], v[60:61] op_sel:[0,0,1] op_sel_hi:[1,1,0] neg_lo:[0,0,1] neg_hi:[0,0,1]
	v_pk_fma_f32 v[16:17], v[16:17], v[4:5], v[60:61] op_sel:[0,0,1] op_sel_hi:[1,0,0]
	v_pk_mul_f32 v[60:61], v[30:31], v[62:63] op_sel_hi:[1,0]
	v_pk_fma_f32 v[22:23], v[24:25], 2.0, v[14:15] op_sel_hi:[1,0,1] neg_lo:[0,0,1] neg_hi:[0,0,1]
	v_pk_add_f32 v[24:25], v[42:43], v[38:39] neg_lo:[0,1] neg_hi:[0,1]
	v_pk_fma_f32 v[62:63], v[32:33], v[50:51], v[64:65] op_sel:[0,0,1] op_sel_hi:[1,1,0] neg_lo:[0,0,1] neg_hi:[0,0,1]
	v_pk_fma_f32 v[32:33], v[32:33], v[50:51], v[64:65] op_sel:[0,0,1] op_sel_hi:[1,0,0]
	v_mov_b32_e32 v59, v17
	v_pk_fma_f32 v[16:17], v[30:31], v[6:7], v[60:61] op_sel:[0,0,1] op_sel_hi:[1,1,0] neg_lo:[0,0,1] neg_hi:[0,0,1]
	v_pk_fma_f32 v[30:31], v[30:31], v[6:7], v[60:61] op_sel:[0,0,1] op_sel_hi:[1,0,0]
	v_pk_fma_f32 v[28:29], v[42:43], 2.0, v[24:25] op_sel_hi:[1,0,1] neg_lo:[0,0,1] neg_hi:[0,0,1]
	v_pk_add_f32 v[38:39], v[14:15], v[24:25] op_sel:[0,1] op_sel_hi:[1,0] neg_lo:[0,1] neg_hi:[0,1]
	v_pk_add_f32 v[24:25], v[14:15], v[24:25] op_sel:[0,1] op_sel_hi:[1,0]
	v_mov_b32_e32 v63, v33
	v_mov_b32_e32 v17, v31
	v_pk_add_f32 v[28:29], v[22:23], v[28:29] neg_lo:[0,1] neg_hi:[0,1]
	v_mov_b32_e32 v39, v25
	v_pk_add_f32 v[30:31], v[58:59], v[62:63] neg_lo:[0,1] neg_hi:[0,1]
	v_pk_add_f32 v[16:17], v[26:27], v[16:17] neg_lo:[0,1] neg_hi:[0,1]
	v_pk_fma_f32 v[22:23], v[22:23], 2.0, v[28:29] op_sel_hi:[1,0,1] neg_lo:[0,0,1] neg_hi:[0,0,1]
	v_pk_fma_f32 v[14:15], v[14:15], 2.0, v[38:39] op_sel_hi:[1,0,1] neg_lo:[0,0,1] neg_hi:[0,0,1]
	v_mov_b32_e32 v67, v19
	v_pk_fma_f32 v[18:19], v[20:21], v[10:11], v[40:41] op_sel:[0,0,1] op_sel_hi:[1,1,0] neg_lo:[0,0,1] neg_hi:[0,0,1]
	v_pk_fma_f32 v[20:21], v[20:21], v[10:11], v[40:41] op_sel:[0,0,1] op_sel_hi:[1,0,0]
	v_mov_b32_e32 v57, v35
	v_pk_fma_f32 v[34:35], v[58:59], 2.0, v[30:31] op_sel_hi:[1,0,1] neg_lo:[0,0,1] neg_hi:[0,0,1]
	v_pk_fma_f32 v[26:27], v[26:27], 2.0, v[16:17] op_sel_hi:[1,0,1] neg_lo:[0,0,1] neg_hi:[0,0,1]
	ds_write2_b64 v154, v[22:23], v[14:15] offset1:13
	ds_write2_b64 v154, v[28:29], v[38:39] offset0:26 offset1:39
	v_pk_add_f32 v[14:15], v[16:17], v[30:31] op_sel:[0,1] op_sel_hi:[1,0] neg_lo:[0,1] neg_hi:[0,1]
	v_pk_add_f32 v[22:23], v[16:17], v[30:31] op_sel:[0,1] op_sel_hi:[1,0]
	v_mov_b32_e32 v19, v21
	v_pk_add_f32 v[34:35], v[26:27], v[34:35] neg_lo:[0,1] neg_hi:[0,1]
	v_mov_b32_e32 v15, v23
	v_pk_add_f32 v[20:21], v[66:67], v[56:57] neg_lo:[0,1] neg_hi:[0,1]
	v_pk_add_f32 v[18:19], v[12:13], v[18:19] neg_lo:[0,1] neg_hi:[0,1]
	v_pk_fma_f32 v[26:27], v[26:27], 2.0, v[34:35] op_sel_hi:[1,0,1] neg_lo:[0,0,1] neg_hi:[0,0,1]
	v_pk_fma_f32 v[16:17], v[16:17], 2.0, v[14:15] op_sel_hi:[1,0,1] neg_lo:[0,0,1] neg_hi:[0,0,1]
	;; [unrolled: 1-line block ×4, first 2 shown]
	ds_write2_b64 v153, v[26:27], v[16:17] offset1:13
	ds_write2_b64 v153, v[34:35], v[14:15] offset0:26 offset1:39
	v_pk_add_f32 v[14:15], v[18:19], v[20:21] op_sel:[0,1] op_sel_hi:[1,0] neg_lo:[0,1] neg_hi:[0,1]
	v_pk_add_f32 v[16:17], v[18:19], v[20:21] op_sel:[0,1] op_sel_hi:[1,0]
	v_pk_add_f32 v[32:33], v[12:13], v[32:33] neg_lo:[0,1] neg_hi:[0,1]
	v_mov_b32_e32 v15, v17
	v_pk_fma_f32 v[12:13], v[12:13], 2.0, v[32:33] op_sel_hi:[1,0,1] neg_lo:[0,0,1] neg_hi:[0,0,1]
	v_pk_fma_f32 v[16:17], v[18:19], 2.0, v[14:15] op_sel_hi:[1,0,1] neg_lo:[0,0,1] neg_hi:[0,0,1]
	ds_write2_b64 v152, v[12:13], v[16:17] offset1:13
	ds_write2_b64 v152, v[32:33], v[14:15] offset0:26 offset1:39
	v_lshlrev_b32_e32 v12, 4, v36
	v_lshlrev_b32_e32 v20, 4, v44
	s_waitcnt lgkmcnt(0)
	; wave barrier
	s_waitcnt lgkmcnt(0)
	global_load_dwordx4 v[16:19], v12, s[10:11] offset:312
	v_mov_b32_e32 v21, 0
	global_load_dwordx4 v[12:15], v20, s[10:11] offset:312
	v_lshl_add_u64 v[56:57], s[10:11], 0, v[20:21]
	ds_read2_b64 v[20:23], v45 offset0:52 offset1:78
	ds_read2_b64 v[24:27], v45 offset0:156 offset1:182
	;; [unrolled: 1-line block ×3, first 2 shown]
	ds_read2_b64 v[32:35], v45 offset1:26
	ds_read2_b64 v[36:39], v45 offset0:104 offset1:130
	ds_read2_b64 v[40:43], v45 offset0:208 offset1:234
	s_waitcnt lgkmcnt(0)
	; wave barrier
	s_waitcnt vmcnt(1) lgkmcnt(0)
	v_pk_mul_f32 v[58:59], v[26:27], v[16:17] op_sel:[0,1]
	v_mov_b32_e32 v60, v19
	s_waitcnt vmcnt(0)
	v_pk_mul_f32 v[62:63], v[24:25], v[12:13] op_sel:[0,1]
	v_mov_b32_e32 v64, v15
	v_pk_mul_f32 v[66:67], v[38:39], v[16:17] op_sel:[0,1]
	v_pk_fma_f32 v[68:69], v[26:27], v[16:17], v[58:59] op_sel:[0,0,1] op_sel_hi:[1,1,0] neg_lo:[0,0,1] neg_hi:[0,0,1]
	v_pk_fma_f32 v[26:27], v[26:27], v[16:17], v[58:59] op_sel:[0,0,1] op_sel_hi:[1,0,0]
	v_pk_mul_f32 v[58:59], v[30:31], v[60:61] op_sel_hi:[1,0]
	v_pk_fma_f32 v[70:71], v[24:25], v[12:13], v[62:63] op_sel:[0,0,1] op_sel_hi:[1,1,0] neg_lo:[0,0,1] neg_hi:[0,0,1]
	v_pk_fma_f32 v[24:25], v[24:25], v[12:13], v[62:63] op_sel:[0,0,1] op_sel_hi:[1,0,0]
	v_pk_mul_f32 v[62:63], v[28:29], v[64:65] op_sel_hi:[1,0]
	;; [unrolled: 3-line block ×3, first 2 shown]
	v_mov_b32_e32 v69, v27
	v_pk_fma_f32 v[26:27], v[30:31], v[18:19], v[58:59] op_sel:[0,0,1] op_sel_hi:[1,1,0] neg_lo:[0,0,1] neg_hi:[0,0,1]
	v_pk_fma_f32 v[30:31], v[30:31], v[18:19], v[58:59] op_sel:[0,0,1] op_sel_hi:[1,0,0]
	v_mov_b32_e32 v71, v25
	v_pk_fma_f32 v[24:25], v[28:29], v[14:15], v[62:63] op_sel:[0,0,1] op_sel_hi:[1,1,0] neg_lo:[0,0,1] neg_hi:[0,0,1]
	v_pk_fma_f32 v[28:29], v[28:29], v[14:15], v[62:63] op_sel:[0,0,1] op_sel_hi:[1,0,0]
	;; [unrolled: 3-line block ×3, first 2 shown]
	v_mov_b32_e32 v27, v31
	v_mov_b32_e32 v25, v29
	;; [unrolled: 1-line block ×3, first 2 shown]
	v_pk_add_f32 v[28:29], v[68:69], v[26:27]
	v_pk_add_f32 v[30:31], v[68:69], v[26:27] neg_lo:[0,1] neg_hi:[0,1]
	v_pk_add_f32 v[42:43], v[70:71], v[24:25]
	v_pk_add_f32 v[58:59], v[70:71], v[24:25] neg_lo:[0,1] neg_hi:[0,1]
	v_pk_fma_f32 v[28:29], v[28:29], 0.5, v[22:23] op_sel_hi:[1,0,1] neg_lo:[1,0,0] neg_hi:[1,0,0]
	v_pk_mul_f32 v[30:31], v[30:31], s[0:1] op_sel_hi:[1,0]
	v_pk_fma_f32 v[42:43], v[42:43], 0.5, v[20:21] op_sel_hi:[1,0,1] neg_lo:[1,0,0] neg_hi:[1,0,0]
	v_pk_mul_f32 v[58:59], v[58:59], s[0:1] op_sel_hi:[1,0]
	v_pk_add_f32 v[60:61], v[72:73], v[38:39]
	v_pk_add_f32 v[62:63], v[28:29], v[30:31] op_sel:[0,1] op_sel_hi:[1,0] neg_lo:[0,1] neg_hi:[0,1]
	v_pk_add_f32 v[28:29], v[28:29], v[30:31] op_sel:[0,1] op_sel_hi:[1,0]
	v_pk_add_f32 v[30:31], v[42:43], v[58:59] op_sel:[0,1] op_sel_hi:[1,0] neg_lo:[0,1] neg_hi:[0,1]
	v_pk_add_f32 v[42:43], v[42:43], v[58:59] op_sel:[0,1] op_sel_hi:[1,0]
	v_pk_add_f32 v[58:59], v[72:73], v[38:39] neg_lo:[0,1] neg_hi:[0,1]
	v_pk_fma_f32 v[60:61], v[60:61], 0.5, v[34:35] op_sel_hi:[1,0,1] neg_lo:[1,0,0] neg_hi:[1,0,0]
	v_pk_mul_f32 v[58:59], v[58:59], s[0:1] op_sel_hi:[1,0]
	v_pk_add_f32 v[20:21], v[20:21], v[70:71]
	v_pk_add_f32 v[66:67], v[60:61], v[58:59] op_sel:[0,1] op_sel_hi:[1,0] neg_lo:[0,1] neg_hi:[0,1]
	v_pk_add_f32 v[58:59], v[60:61], v[58:59] op_sel:[0,1] op_sel_hi:[1,0]
	v_pk_mul_f32 v[60:61], v[36:37], v[12:13] op_sel:[0,1]
	v_pk_add_f32 v[22:23], v[22:23], v[68:69]
	v_pk_fma_f32 v[74:75], v[36:37], v[12:13], v[60:61] op_sel:[0,0,1] op_sel_hi:[1,1,0] neg_lo:[0,0,1] neg_hi:[0,0,1]
	v_pk_fma_f32 v[36:37], v[36:37], v[12:13], v[60:61] op_sel:[0,0,1] op_sel_hi:[1,0,0]
	v_pk_add_f32 v[20:21], v[20:21], v[24:25]
	v_mov_b32_e32 v75, v37
	v_pk_mul_f32 v[36:37], v[40:41], v[64:65] op_sel_hi:[1,0]
	v_pk_add_f32 v[22:23], v[22:23], v[26:27]
	v_pk_fma_f32 v[60:61], v[40:41], v[14:15], v[36:37] op_sel:[0,0,1] op_sel_hi:[1,1,0] neg_lo:[0,0,1] neg_hi:[0,0,1]
	v_pk_fma_f32 v[36:37], v[40:41], v[14:15], v[36:37] op_sel:[0,0,1] op_sel_hi:[1,0,0]
	v_pk_add_f32 v[34:35], v[34:35], v[72:73]
	v_mov_b32_e32 v61, v37
	v_pk_add_f32 v[40:41], v[74:75], v[60:61]
	v_pk_add_f32 v[36:37], v[32:33], v[74:75]
	v_pk_fma_f32 v[32:33], v[40:41], 0.5, v[32:33] op_sel_hi:[1,0,1] neg_lo:[1,0,0] neg_hi:[1,0,0]
	v_pk_add_f32 v[40:41], v[74:75], v[60:61] neg_lo:[0,1] neg_hi:[0,1]
	v_mov_b32_e32 v24, v42
	v_pk_mul_f32 v[40:41], v[40:41], s[0:1] op_sel_hi:[1,0]
	v_mov_b32_e32 v25, v31
	ds_write2_b64 v45, v[20:21], v[22:23] offset0:156 offset1:182
	v_mov_b32_e32 v20, v28
	v_mov_b32_e32 v21, v63
	v_pk_add_f32 v[36:37], v[36:37], v[60:61]
	v_pk_add_f32 v[60:61], v[32:33], v[40:41] op_sel:[0,1] op_sel_hi:[1,0]
	v_pk_add_f32 v[32:33], v[32:33], v[40:41] op_sel:[0,1] op_sel_hi:[1,0] neg_lo:[0,1] neg_hi:[0,1]
	v_pk_add_f32 v[34:35], v[34:35], v[38:39]
	ds_write2_b64 v45, v[24:25], v[20:21] offset0:208 offset1:234
	v_sub_co_u32_e64 v20, s[0:1], v56, v151
	v_mov_b32_e32 v40, v60
	v_mov_b32_e32 v41, v33
	v_mov_b32_e32 v33, v61
	ds_write2_b64 v45, v[36:37], v[34:35] offset1:26
	v_mov_b32_e32 v34, v58
	v_mov_b32_e32 v35, v67
	v_mov_b32_e32 v67, v59
	v_mov_b32_e32 v31, v43
	v_mov_b32_e32 v63, v29
	v_subbrev_co_u32_e64 v21, s[0:1], 0, v57, s[0:1]
	ds_write2_b64 v45, v[40:41], v[34:35] offset0:52 offset1:78
	ds_write2_b64 v45, v[32:33], v[66:67] offset0:104 offset1:130
	;; [unrolled: 1-line block ×3, first 2 shown]
	s_waitcnt lgkmcnt(0)
	; wave barrier
	s_waitcnt lgkmcnt(0)
	global_load_dwordx2 v[60:61], v[20:21], off offset:1352
	global_load_dwordx2 v[62:63], v[20:21], off offset:1560
	;; [unrolled: 1-line block ×6, first 2 shown]
	ds_read2_b64 v[20:23], v45 offset0:156 offset1:182
	ds_read2_b64 v[26:29], v45 offset1:26
	ds_read2_b64 v[30:33], v45 offset0:208 offset1:234
	ds_read2_b64 v[34:37], v45 offset0:52 offset1:78
	;; [unrolled: 1-line block ×4, first 2 shown]
	s_waitcnt vmcnt(5)
	v_mov_b32_e32 v24, v61
	s_waitcnt lgkmcnt(5)
	v_pk_mul_f32 v[42:43], v[22:23], v[60:61] op_sel:[1,0] op_sel_hi:[0,1]
	s_waitcnt vmcnt(3)
	v_pk_mul_f32 v[76:77], v[20:21], v[64:65] op_sel:[0,1]
	v_pk_mul_f32 v[24:25], v[22:23], v[24:25] op_sel:[1,0] op_sel_hi:[0,1]
	v_mov_b32_e32 v43, v42
	v_pk_fma_f32 v[80:81], v[20:21], v[64:65], v[76:77] op_sel:[0,0,1] op_sel_hi:[1,1,0] neg_lo:[0,0,1] neg_hi:[0,0,1]
	v_pk_fma_f32 v[20:21], v[20:21], v[64:65], v[76:77] op_sel:[0,0,1] op_sel_hi:[1,0,0]
	v_pk_fma_f32 v[24:25], v[22:23], v[60:61], v[24:25] neg_lo:[0,0,1] neg_hi:[0,0,1]
	v_pk_fma_f32 v[42:43], v[22:23], v[60:61], v[42:43] op_sel:[1,0,0] op_sel_hi:[0,1,1]
	v_mov_b32_e32 v81, v21
	s_waitcnt lgkmcnt(4)
	v_pk_add_f32 v[22:23], v[26:27], v[80:81] neg_lo:[0,1] neg_hi:[0,1]
	v_mov_b32_e32 v25, v43
	s_waitcnt vmcnt(2) lgkmcnt(3)
	v_pk_mul_f32 v[78:79], v[32:33], v[66:67] op_sel:[0,1]
	v_pk_fma_f32 v[20:21], v[26:27], 2.0, v[22:23] op_sel_hi:[1,0,1] neg_lo:[0,0,1] neg_hi:[0,0,1]
	v_pk_add_f32 v[26:27], v[28:29], v[24:25] neg_lo:[0,1] neg_hi:[0,1]
	v_mov_b32_e32 v72, v63
	v_pk_mul_f32 v[74:75], v[30:31], v[62:63] op_sel:[1,0] op_sel_hi:[0,1]
	v_pk_fma_f32 v[24:25], v[28:29], 2.0, v[26:27] op_sel_hi:[1,0,1] neg_lo:[0,0,1] neg_hi:[0,0,1]
	v_pk_fma_f32 v[42:43], v[32:33], v[66:67], v[78:79] op_sel:[0,0,1] op_sel_hi:[1,1,0] neg_lo:[0,0,1] neg_hi:[0,0,1]
	v_pk_fma_f32 v[28:29], v[32:33], v[66:67], v[78:79] op_sel:[0,0,1] op_sel_hi:[1,0,0]
	v_pk_mul_f32 v[72:73], v[30:31], v[72:73] op_sel:[1,0] op_sel_hi:[0,1]
	v_mov_b32_e32 v75, v74
	v_mov_b32_e32 v43, v29
	s_waitcnt vmcnt(1) lgkmcnt(0)
	v_pk_mul_f32 v[28:29], v[38:39], v[58:59] op_sel:[0,1]
	v_pk_fma_f32 v[72:73], v[30:31], v[62:63], v[72:73] neg_lo:[0,0,1] neg_hi:[0,0,1]
	v_pk_fma_f32 v[30:31], v[30:31], v[62:63], v[74:75] op_sel:[1,0,0] op_sel_hi:[0,1,1]
	v_pk_fma_f32 v[74:75], v[38:39], v[58:59], v[28:29] op_sel:[0,0,1] op_sel_hi:[1,1,0] neg_lo:[0,0,1] neg_hi:[0,0,1]
	v_pk_fma_f32 v[28:29], v[38:39], v[58:59], v[28:29] op_sel:[0,0,1] op_sel_hi:[1,0,0]
	v_mov_b32_e32 v73, v31
	v_mov_b32_e32 v75, v29
	s_waitcnt vmcnt(0)
	v_pk_mul_f32 v[28:29], v[40:41], v[56:57] op_sel:[0,1]
	v_pk_add_f32 v[30:31], v[34:35], v[72:73] neg_lo:[0,1] neg_hi:[0,1]
	v_pk_fma_f32 v[76:77], v[40:41], v[56:57], v[28:29] op_sel:[0,0,1] op_sel_hi:[1,1,0] neg_lo:[0,0,1] neg_hi:[0,0,1]
	v_pk_fma_f32 v[28:29], v[40:41], v[56:57], v[28:29] op_sel:[0,0,1] op_sel_hi:[1,0,0]
	v_pk_add_f32 v[38:39], v[68:69], v[74:75] neg_lo:[0,1] neg_hi:[0,1]
	v_mov_b32_e32 v77, v29
	v_pk_fma_f32 v[28:29], v[34:35], 2.0, v[30:31] op_sel_hi:[1,0,1] neg_lo:[0,0,1] neg_hi:[0,0,1]
	v_pk_add_f32 v[34:35], v[36:37], v[42:43] neg_lo:[0,1] neg_hi:[0,1]
	v_pk_add_f32 v[42:43], v[70:71], v[76:77] neg_lo:[0,1] neg_hi:[0,1]
	v_pk_fma_f32 v[32:33], v[36:37], 2.0, v[34:35] op_sel_hi:[1,0,1] neg_lo:[0,0,1] neg_hi:[0,0,1]
	v_pk_fma_f32 v[36:37], v[68:69], 2.0, v[38:39] op_sel_hi:[1,0,1] neg_lo:[0,0,1] neg_hi:[0,0,1]
	;; [unrolled: 1-line block ×3, first 2 shown]
	ds_write2_b64 v155, v[20:21], v[24:25] offset1:26
	ds_write2_b64 v155, v[22:23], v[26:27] offset0:156 offset1:182
	ds_write2_b64 v155, v[28:29], v[32:33] offset0:52 offset1:78
	;; [unrolled: 1-line block ×3, first 2 shown]
	ds_write_b64 v155, v[36:37] offset:832
	ds_write_b64 v104, v[38:39] offset:2080
	ds_write_b64 v155, v[40:41] offset:1040
	ds_write_b64 v104, v[42:43] offset:2288
	s_waitcnt lgkmcnt(0)
	; wave barrier
	s_waitcnt lgkmcnt(0)
	s_and_saveexec_b64 s[0:1], vcc
	s_cbranch_execz .LBB0_9
; %bb.8:
	global_load_dwordx2 v[92:93], v47, s[2:3] offset:2496
	s_add_u32 s10, s2, 0x9c0
	s_addc_u32 s11, s3, 0
	global_load_dwordx2 v[94:95], v47, s[10:11] offset:192
	global_load_dwordx2 v[96:97], v47, s[10:11] offset:384
	;; [unrolled: 1-line block ×12, first 2 shown]
	ds_read2_b64 v[68:71], v155 offset1:24
	ds_read2_b64 v[72:75], v155 offset0:48 offset1:72
	ds_read2_b64 v[76:79], v155 offset0:96 offset1:120
	;; [unrolled: 1-line block ×4, first 2 shown]
	v_add_u32_e32 v105, 0x400, v155
	ds_read_b64 v[122:123], v155 offset:2304
	ds_read2_b64 v[88:91], v105 offset0:112 offset1:136
	s_waitcnt vmcnt(9) lgkmcnt(5)
	v_mul_f32_e32 v126, v75, v99
	s_waitcnt vmcnt(8) lgkmcnt(4)
	v_mul_f32_e32 v127, v77, v101
	s_waitcnt vmcnt(7)
	v_mul_f32_e32 v128, v79, v107
	s_waitcnt vmcnt(6) lgkmcnt(3)
	v_mul_f32_e32 v129, v81, v109
	s_waitcnt vmcnt(5)
	v_mul_f32_e32 v130, v83, v111
	s_waitcnt vmcnt(4) lgkmcnt(2)
	v_mul_f32_e32 v131, v85, v113
	v_mul_f32_e32 v124, v69, v93
	;; [unrolled: 1-line block ×3, first 2 shown]
	v_fma_f32 v124, v68, v92, -v124
	v_fmac_f32_e32 v125, v69, v92
	v_mul_f32_e32 v68, v71, v95
	v_mul_f32_e32 v69, v70, v95
	;; [unrolled: 1-line block ×10, first 2 shown]
	s_waitcnt vmcnt(3)
	v_mul_f32_e32 v132, v87, v115
	v_mul_f32_e32 v111, v86, v115
	s_waitcnt vmcnt(2) lgkmcnt(0)
	v_mul_f32_e32 v133, v89, v117
	v_mul_f32_e32 v113, v88, v117
	s_waitcnt vmcnt(1)
	v_mul_f32_e32 v134, v91, v119
	v_mul_f32_e32 v115, v90, v119
	s_waitcnt vmcnt(0)
	v_mul_f32_e32 v119, v123, v121
	v_mul_f32_e32 v117, v122, v121
	v_fma_f32 v68, v70, v94, -v68
	v_fmac_f32_e32 v69, v71, v94
	v_fma_f32 v92, v72, v96, -v92
	v_fmac_f32_e32 v93, v73, v96
	;; [unrolled: 2-line block ×12, first 2 shown]
	ds_write2_b64 v155, v[124:125], v[68:69] offset1:24
	ds_write2_b64 v155, v[92:93], v[94:95] offset0:48 offset1:72
	ds_write2_b64 v155, v[96:97], v[98:99] offset0:96 offset1:120
	;; [unrolled: 1-line block ×5, first 2 shown]
	ds_write_b64 v155, v[116:117] offset:2304
.LBB0_9:
	s_or_b64 exec, exec, s[0:1]
	s_waitcnt lgkmcnt(0)
	; wave barrier
	s_waitcnt lgkmcnt(0)
	s_and_saveexec_b64 s[0:1], vcc
	s_cbranch_execz .LBB0_11
; %bb.10:
	ds_read2_b64 v[20:23], v155 offset1:24
	ds_read2_b64 v[24:27], v155 offset0:48 offset1:72
	ds_read2_b64 v[28:31], v155 offset0:96 offset1:120
	;; [unrolled: 1-line block ×4, first 2 shown]
	v_add_u32_e32 v40, 0x400, v155
	ds_read2_b64 v[40:43], v40 offset0:112 offset1:136
	ds_read_b64 v[54:55], v155 offset:2304
.LBB0_11:
	s_or_b64 exec, exec, s[0:1]
	v_mov_b32_e32 v100, v8
	v_mov_b32_e32 v101, v8
	;; [unrolled: 1-line block ×51, first 2 shown]
	v_add_u32_e32 v157, 0x340, v104
	v_add_u32_e32 v156, 0x410, v104
	s_waitcnt lgkmcnt(0)
	; wave barrier
	s_waitcnt lgkmcnt(0)
	s_and_saveexec_b64 s[0:1], vcc
	s_cbranch_execz .LBB0_13
; %bb.12:
	v_pk_add_f32 v[104:105], v[22:23], v[20:21]
	v_pk_add_f32 v[148:149], v[22:23], v[54:55] neg_lo:[0,1] neg_hi:[0,1]
	s_mov_b32 s10, 0xbeedf032
	v_lshl_add_u32 v236, v103, 3, v102
	v_pk_add_f32 v[102:103], v[24:25], v[104:105]
	v_pk_add_f32 v[146:147], v[54:55], v[22:23]
	v_pk_add_f32 v[144:145], v[24:25], v[42:43] neg_lo:[0,1] neg_hi:[0,1]
	v_pk_add_f32 v[142:143], v[42:43], v[24:25]
	v_pk_mul_f32 v[24:25], v[148:149], s[10:11] op_sel_hi:[1,0]
	v_pk_add_f32 v[102:103], v[26:27], v[102:103]
	v_pk_fma_f32 v[22:23], v[146:147], s[14:15], v[24:25] op_sel:[0,0,1] op_sel_hi:[1,0,0]
	v_pk_fma_f32 v[24:25], v[146:147], s[14:15], v[24:25] op_sel:[0,0,1] op_sel_hi:[1,0,0] neg_lo:[0,0,1] neg_hi:[0,0,1]
	v_pk_add_f32 v[102:103], v[28:29], v[102:103]
	v_pk_add_f32 v[140:141], v[26:27], v[40:41] neg_lo:[0,1] neg_hi:[0,1]
	v_pk_add_f32 v[138:139], v[40:41], v[26:27]
	v_pk_add_f32 v[136:137], v[28:29], v[38:39] neg_lo:[0,1] neg_hi:[0,1]
	v_pk_add_f32 v[134:135], v[38:39], v[28:29]
	v_mov_b32_e32 v26, v22
	v_mov_b32_e32 v27, v25
	v_pk_mul_f32 v[28:29], v[144:145], s[24:25] op_sel_hi:[1,0]
	v_pk_add_f32 v[102:103], v[30:31], v[102:103]
	v_pk_add_f32 v[132:133], v[30:31], v[36:37] neg_lo:[0,1] neg_hi:[0,1]
	v_pk_add_f32 v[130:131], v[36:37], v[30:31]
	v_pk_add_f32 v[30:31], v[20:21], v[26:27]
	v_pk_fma_f32 v[26:27], v[142:143], s[12:13], v[28:29] op_sel:[0,0,1] op_sel_hi:[1,0,0]
	v_pk_fma_f32 v[28:29], v[142:143], s[12:13], v[28:29] op_sel:[0,0,1] op_sel_hi:[1,0,0] neg_lo:[0,0,1] neg_hi:[0,0,1]
	v_pk_add_f32 v[102:103], v[32:33], v[102:103]
	v_pk_add_f32 v[128:129], v[32:33], v[34:35] neg_lo:[0,1] neg_hi:[0,1]
	v_pk_add_f32 v[126:127], v[34:35], v[32:33]
	v_mov_b32_e32 v32, v26
	v_mov_b32_e32 v33, v29
	s_mov_b32 s36, 0xbf7e222b
	v_pk_add_f32 v[102:103], v[34:35], v[102:103]
	v_pk_add_f32 v[34:35], v[32:33], v[30:31]
	s_mov_b32 s10, 0x3df6dbef
	v_pk_mul_f32 v[32:33], v[140:141], s[36:37] op_sel_hi:[1,0]
	v_pk_add_f32 v[102:103], v[36:37], v[102:103]
	v_pk_fma_f32 v[30:31], v[138:139], s[10:11], v[32:33] op_sel:[0,0,1] op_sel_hi:[1,0,0]
	v_pk_fma_f32 v[32:33], v[138:139], s[10:11], v[32:33] op_sel:[0,0,1] op_sel_hi:[1,0,0] neg_lo:[0,0,1] neg_hi:[0,0,1]
	v_mov_b32_e32 v36, v30
	v_mov_b32_e32 v37, v33
	v_pk_add_f32 v[102:103], v[38:39], v[102:103]
	v_pk_add_f32 v[38:39], v[36:37], v[34:35]
	v_pk_mul_f32 v[36:37], v[136:137], s[18:19] op_sel_hi:[1,0]
	v_pk_add_f32 v[102:103], v[40:41], v[102:103]
	v_pk_fma_f32 v[34:35], v[134:135], s[16:17], v[36:37] op_sel:[0,0,1] op_sel_hi:[1,0,0]
	v_pk_fma_f32 v[36:37], v[134:135], s[16:17], v[36:37] op_sel:[0,0,1] op_sel_hi:[1,0,0] neg_lo:[0,0,1] neg_hi:[0,0,1]
	v_mov_b32_e32 v40, v34
	v_mov_b32_e32 v41, v37
	v_pk_add_f32 v[102:103], v[42:43], v[102:103]
	v_pk_add_f32 v[42:43], v[40:41], v[38:39]
	v_pk_mul_f32 v[40:41], v[132:133], s[22:23] op_sel_hi:[1,0]
	v_pk_add_f32 v[102:103], v[54:55], v[102:103]
	v_pk_fma_f32 v[38:39], v[130:131], s[20:21], v[40:41] op_sel:[0,0,1] op_sel_hi:[1,0,0]
	v_pk_fma_f32 v[40:41], v[130:131], s[20:21], v[40:41] op_sel:[0,0,1] op_sel_hi:[1,0,0] neg_lo:[0,0,1] neg_hi:[0,0,1]
	v_mov_b32_e32 v54, v38
	v_mov_b32_e32 v55, v41
	v_pk_add_f32 v[104:105], v[54:55], v[42:43]
	v_pk_mul_f32 v[54:55], v[128:129], s[28:29] op_sel_hi:[1,0]
	v_pk_mul_f32 v[108:109], v[144:145], s[18:19] op_sel_hi:[1,0]
	v_pk_fma_f32 v[42:43], v[126:127], s[26:27], v[54:55] op_sel:[0,0,1] op_sel_hi:[1,0,0]
	v_pk_fma_f32 v[54:55], v[126:127], s[26:27], v[54:55] op_sel:[0,0,1] op_sel_hi:[1,0,0] neg_lo:[0,0,1] neg_hi:[0,0,1]
	v_mov_b32_e32 v106, v42
	v_mov_b32_e32 v107, v55
	v_pk_add_f32 v[104:105], v[106:107], v[104:105]
	ds_write2_b64 v236, v[102:103], v[104:105] offset1:1
	v_pk_mul_f32 v[104:105], v[148:149], s[24:25] op_sel_hi:[1,0]
	s_mov_b32 s38, 0x3f29c268
	v_pk_fma_f32 v[102:103], v[146:147], s[12:13], v[104:105] op_sel:[0,0,1] op_sel_hi:[1,0,0]
	v_pk_fma_f32 v[104:105], v[146:147], s[12:13], v[104:105] op_sel:[0,0,1] op_sel_hi:[1,0,0] neg_lo:[0,0,1] neg_hi:[0,0,1]
	v_mov_b32_e32 v106, v102
	v_mov_b32_e32 v107, v105
	v_pk_add_f32 v[110:111], v[20:21], v[106:107]
	v_pk_fma_f32 v[106:107], v[142:143], s[16:17], v[108:109] op_sel:[0,0,1] op_sel_hi:[1,0,0]
	v_pk_fma_f32 v[108:109], v[142:143], s[16:17], v[108:109] op_sel:[0,0,1] op_sel_hi:[1,0,0] neg_lo:[0,0,1] neg_hi:[0,0,1]
	v_mov_b32_e32 v112, v106
	v_mov_b32_e32 v113, v109
	v_pk_add_f32 v[114:115], v[112:113], v[110:111]
	v_pk_mul_f32 v[112:113], v[140:141], s[28:29] op_sel_hi:[1,0]
	s_mov_b32 s30, 0x3f7e222b
	v_pk_fma_f32 v[110:111], v[138:139], s[26:27], v[112:113] op_sel:[0,0,1] op_sel_hi:[1,0,0]
	v_pk_fma_f32 v[112:113], v[138:139], s[26:27], v[112:113] op_sel:[0,0,1] op_sel_hi:[1,0,0] neg_lo:[0,0,1] neg_hi:[0,0,1]
	v_mov_b32_e32 v116, v110
	v_mov_b32_e32 v117, v113
	v_pk_add_f32 v[118:119], v[116:117], v[114:115]
	v_pk_mul_f32 v[116:117], v[136:137], s[38:39] op_sel_hi:[1,0]
	s_mov_b32 s34, 0x3eedf032
	v_pk_fma_f32 v[114:115], v[134:135], s[20:21], v[116:117] op_sel:[0,0,1] op_sel_hi:[1,0,0]
	v_pk_fma_f32 v[116:117], v[134:135], s[20:21], v[116:117] op_sel:[0,0,1] op_sel_hi:[1,0,0] neg_lo:[0,0,1] neg_hi:[0,0,1]
	v_mov_b32_e32 v120, v114
	v_mov_b32_e32 v121, v117
	v_pk_add_f32 v[122:123], v[120:121], v[118:119]
	v_pk_mul_f32 v[120:121], v[132:133], s[30:31] op_sel_hi:[1,0]
	v_pk_mul_f32 v[162:163], v[144:145], s[28:29] op_sel_hi:[1,0]
	v_pk_fma_f32 v[118:119], v[130:131], s[10:11], v[120:121] op_sel:[0,0,1] op_sel_hi:[1,0,0]
	v_pk_fma_f32 v[120:121], v[130:131], s[10:11], v[120:121] op_sel:[0,0,1] op_sel_hi:[1,0,0] neg_lo:[0,0,1] neg_hi:[0,0,1]
	v_mov_b32_e32 v124, v118
	v_mov_b32_e32 v125, v121
	v_pk_add_f32 v[158:159], v[124:125], v[122:123]
	v_pk_mul_f32 v[124:125], v[128:129], s[34:35] op_sel_hi:[1,0]
	s_mov_b32 s40, 0x3f6f5d39
	v_pk_fma_f32 v[122:123], v[126:127], s[14:15], v[124:125] op_sel:[0,0,1] op_sel_hi:[1,0,0]
	v_pk_fma_f32 v[124:125], v[126:127], s[14:15], v[124:125] op_sel:[0,0,1] op_sel_hi:[1,0,0] neg_lo:[0,0,1] neg_hi:[0,0,1]
	v_mov_b32_e32 v160, v122
	v_mov_b32_e32 v161, v125
	v_pk_add_f32 v[158:159], v[160:161], v[158:159]
	v_pk_mul_f32 v[160:161], v[148:149], s[36:37] op_sel_hi:[1,0]
	v_pk_fma_f32 v[176:177], v[142:143], s[26:27], v[162:163] op_sel:[0,0,1] op_sel_hi:[1,0,0]
	v_pk_fma_f32 v[172:173], v[146:147], s[10:11], v[160:161] op_sel:[0,0,1] op_sel_hi:[1,0,0]
	v_pk_fma_f32 v[160:161], v[146:147], s[10:11], v[160:161] op_sel:[0,0,1] op_sel_hi:[1,0,0] neg_lo:[0,0,1] neg_hi:[0,0,1]
	v_mov_b32_e32 v174, v172
	v_mov_b32_e32 v175, v161
	v_pk_fma_f32 v[162:163], v[142:143], s[26:27], v[162:163] op_sel:[0,0,1] op_sel_hi:[1,0,0] neg_lo:[0,0,1] neg_hi:[0,0,1]
	v_pk_mul_f32 v[164:165], v[140:141], s[40:41] op_sel_hi:[1,0]
	v_pk_add_f32 v[174:175], v[20:21], v[174:175]
	v_mov_b32_e32 v178, v176
	v_mov_b32_e32 v179, v163
	v_pk_add_f32 v[174:175], v[178:179], v[174:175]
	v_pk_fma_f32 v[178:179], v[138:139], s[16:17], v[164:165] op_sel:[0,0,1] op_sel_hi:[1,0,0]
	v_pk_fma_f32 v[164:165], v[138:139], s[16:17], v[164:165] op_sel:[0,0,1] op_sel_hi:[1,0,0] neg_lo:[0,0,1] neg_hi:[0,0,1]
	v_pk_mul_f32 v[166:167], v[136:137], s[34:35] op_sel_hi:[1,0]
	v_mov_b32_e32 v180, v178
	v_mov_b32_e32 v181, v165
	v_pk_add_f32 v[174:175], v[180:181], v[174:175]
	v_pk_fma_f32 v[180:181], v[134:135], s[14:15], v[166:167] op_sel:[0,0,1] op_sel_hi:[1,0,0]
	v_pk_fma_f32 v[166:167], v[134:135], s[14:15], v[166:167] op_sel:[0,0,1] op_sel_hi:[1,0,0] neg_lo:[0,0,1] neg_hi:[0,0,1]
	v_pk_mul_f32 v[168:169], v[132:133], s[24:25] op_sel_hi:[1,0]
	;; [unrolled: 6-line block ×3, first 2 shown]
	v_mov_b32_e32 v184, v182
	v_mov_b32_e32 v185, v169
	v_pk_add_f32 v[174:175], v[184:185], v[174:175]
	v_pk_fma_f32 v[184:185], v[126:127], s[20:21], v[170:171] op_sel:[0,0,1] op_sel_hi:[1,0,0]
	v_pk_fma_f32 v[170:171], v[126:127], s[20:21], v[170:171] op_sel:[0,0,1] op_sel_hi:[1,0,0] neg_lo:[0,0,1] neg_hi:[0,0,1]
	v_mov_b32_e32 v186, v184
	v_mov_b32_e32 v187, v171
	v_pk_add_f32 v[174:175], v[186:187], v[174:175]
	ds_write2_b64 v236, v[158:159], v[174:175] offset0:2 offset1:3
	v_pk_mul_f32 v[158:159], v[148:149], s[18:19] op_sel_hi:[1,0]
	v_pk_mul_f32 v[174:175], v[144:145], s[38:39] op_sel_hi:[1,0]
	v_pk_fma_f32 v[192:193], v[146:147], s[16:17], v[158:159] op_sel:[0,0,1] op_sel_hi:[1,0,0]
	v_pk_fma_f32 v[158:159], v[146:147], s[16:17], v[158:159] op_sel:[0,0,1] op_sel_hi:[1,0,0] neg_lo:[0,0,1] neg_hi:[0,0,1]
	v_mov_b32_e32 v194, v192
	v_mov_b32_e32 v195, v159
	v_pk_fma_f32 v[196:197], v[142:143], s[20:21], v[174:175] op_sel:[0,0,1] op_sel_hi:[1,0,0]
	v_pk_fma_f32 v[174:175], v[142:143], s[20:21], v[174:175] op_sel:[0,0,1] op_sel_hi:[1,0,0] neg_lo:[0,0,1] neg_hi:[0,0,1]
	v_pk_mul_f32 v[186:187], v[140:141], s[34:35] op_sel_hi:[1,0]
	v_pk_add_f32 v[194:195], v[20:21], v[194:195]
	v_mov_b32_e32 v198, v196
	v_mov_b32_e32 v199, v175
	v_pk_add_f32 v[194:195], v[198:199], v[194:195]
	v_pk_fma_f32 v[198:199], v[138:139], s[14:15], v[186:187] op_sel:[0,0,1] op_sel_hi:[1,0,0]
	v_pk_fma_f32 v[186:187], v[138:139], s[14:15], v[186:187] op_sel:[0,0,1] op_sel_hi:[1,0,0] neg_lo:[0,0,1] neg_hi:[0,0,1]
	v_pk_mul_f32 v[188:189], v[136:137], s[36:37] op_sel_hi:[1,0]
	v_mov_b32_e32 v200, v198
	v_mov_b32_e32 v201, v187
	s_mov_b32 s36, 0x3e750f2a
	v_pk_add_f32 v[194:195], v[200:201], v[194:195]
	v_pk_fma_f32 v[200:201], v[134:135], s[10:11], v[188:189] op_sel:[0,0,1] op_sel_hi:[1,0,0]
	v_pk_fma_f32 v[188:189], v[134:135], s[10:11], v[188:189] op_sel:[0,0,1] op_sel_hi:[1,0,0] neg_lo:[0,0,1] neg_hi:[0,0,1]
	v_pk_mul_f32 v[190:191], v[132:133], s[36:37] op_sel_hi:[1,0]
	v_mov_b32_e32 v202, v200
	v_mov_b32_e32 v203, v189
	v_pk_add_f32 v[194:195], v[202:203], v[194:195]
	v_pk_fma_f32 v[202:203], v[130:131], s[26:27], v[190:191] op_sel:[0,0,1] op_sel_hi:[1,0,0]
	v_pk_fma_f32 v[190:191], v[130:131], s[26:27], v[190:191] op_sel:[0,0,1] op_sel_hi:[1,0,0] neg_lo:[0,0,1] neg_hi:[0,0,1]
	v_mov_b32_e32 v204, v202
	v_mov_b32_e32 v205, v191
	s_mov_b32 s38, 0x3f52af12
	v_pk_add_f32 v[194:195], v[204:205], v[194:195]
	v_pk_mul_f32 v[204:205], v[128:129], s[38:39] op_sel_hi:[1,0]
	v_pk_mul_f32 v[214:215], v[144:145], s[30:31] op_sel_hi:[1,0]
	v_pk_fma_f32 v[206:207], v[126:127], s[12:13], v[204:205] op_sel:[0,0,1] op_sel_hi:[1,0,0]
	v_pk_fma_f32 v[204:205], v[126:127], s[12:13], v[204:205] op_sel:[0,0,1] op_sel_hi:[1,0,0] neg_lo:[0,0,1] neg_hi:[0,0,1]
	v_mov_b32_e32 v208, v206
	v_mov_b32_e32 v209, v205
	v_pk_add_f32 v[194:195], v[208:209], v[194:195]
	v_pk_mul_f32 v[208:209], v[148:149], s[22:23] op_sel_hi:[1,0]
	v_pk_fma_f32 v[216:217], v[142:143], s[10:11], v[214:215] op_sel:[0,0,1] op_sel_hi:[1,0,0]
	v_pk_fma_f32 v[210:211], v[146:147], s[20:21], v[208:209] op_sel:[0,0,1] op_sel_hi:[1,0,0]
	v_pk_fma_f32 v[208:209], v[146:147], s[20:21], v[208:209] op_sel:[0,0,1] op_sel_hi:[1,0,0] neg_lo:[0,0,1] neg_hi:[0,0,1]
	v_mov_b32_e32 v212, v210
	v_mov_b32_e32 v213, v209
	v_pk_fma_f32 v[214:215], v[142:143], s[10:11], v[214:215] op_sel:[0,0,1] op_sel_hi:[1,0,0] neg_lo:[0,0,1] neg_hi:[0,0,1]
	v_pk_add_f32 v[212:213], v[20:21], v[212:213]
	v_mov_b32_e32 v218, v216
	v_mov_b32_e32 v219, v215
	v_pk_add_f32 v[212:213], v[218:219], v[212:213]
	v_pk_mul_f32 v[218:219], v[140:141], s[24:25] op_sel_hi:[1,0]
	v_pk_mul_f32 v[148:149], v[148:149], s[28:29] op_sel_hi:[1,0]
	v_pk_fma_f32 v[220:221], v[138:139], s[12:13], v[218:219] op_sel:[0,0,1] op_sel_hi:[1,0,0]
	v_pk_fma_f32 v[218:219], v[138:139], s[12:13], v[218:219] op_sel:[0,0,1] op_sel_hi:[1,0,0] neg_lo:[0,0,1] neg_hi:[0,0,1]
	v_mov_b32_e32 v222, v220
	v_mov_b32_e32 v223, v219
	v_pk_add_f32 v[212:213], v[222:223], v[212:213]
	v_pk_mul_f32 v[222:223], v[136:137], s[36:37] op_sel_hi:[1,0]
	v_pk_mul_f32 v[144:145], v[144:145], s[34:35] op_sel_hi:[1,0]
	v_pk_fma_f32 v[224:225], v[134:135], s[26:27], v[222:223] op_sel:[0,0,1] op_sel_hi:[1,0,0]
	v_pk_fma_f32 v[222:223], v[134:135], s[26:27], v[222:223] op_sel:[0,0,1] op_sel_hi:[1,0,0] neg_lo:[0,0,1] neg_hi:[0,0,1]
	;; [unrolled: 7-line block ×4, first 2 shown]
	v_mov_b32_e32 v234, v232
	v_mov_b32_e32 v235, v231
	v_pk_add_f32 v[212:213], v[234:235], v[212:213]
	ds_write2_b64 v236, v[194:195], v[212:213] offset0:4 offset1:5
	v_pk_fma_f32 v[194:195], v[146:147], s[26:27], v[148:149] op_sel:[0,0,1] op_sel_hi:[1,0,0]
	v_pk_fma_f32 v[146:147], v[146:147], s[26:27], v[148:149] op_sel:[0,0,1] op_sel_hi:[1,0,0] neg_lo:[0,0,1] neg_hi:[0,0,1]
	v_pk_fma_f32 v[148:149], v[142:143], s[14:15], v[144:145] op_sel:[0,0,1] op_sel_hi:[1,0,0]
	v_pk_fma_f32 v[142:143], v[142:143], s[14:15], v[144:145] op_sel:[0,0,1] op_sel_hi:[1,0,0] neg_lo:[0,0,1] neg_hi:[0,0,1]
	v_mov_b32_e32 v144, v194
	v_mov_b32_e32 v145, v147
	v_pk_add_f32 v[144:145], v[20:21], v[144:145]
	v_mov_b32_e32 v212, v148
	v_mov_b32_e32 v213, v143
	v_pk_add_f32 v[144:145], v[212:213], v[144:145]
	v_pk_fma_f32 v[212:213], v[138:139], s[20:21], v[140:141] op_sel:[0,0,1] op_sel_hi:[1,0,0]
	v_pk_fma_f32 v[138:139], v[138:139], s[20:21], v[140:141] op_sel:[0,0,1] op_sel_hi:[1,0,0] neg_lo:[0,0,1] neg_hi:[0,0,1]
	v_mov_b32_e32 v140, v212
	v_mov_b32_e32 v141, v139
	v_pk_add_f32 v[140:141], v[140:141], v[144:145]
	v_pk_fma_f32 v[144:145], v[134:135], s[12:13], v[136:137] op_sel:[0,0,1] op_sel_hi:[1,0,0]
	v_pk_fma_f32 v[134:135], v[134:135], s[12:13], v[136:137] op_sel:[0,0,1] op_sel_hi:[1,0,0] neg_lo:[0,0,1] neg_hi:[0,0,1]
	v_mov_b32_e32 v136, v144
	v_mov_b32_e32 v137, v135
	v_pk_mul_f32 v[132:133], v[132:133], s[18:19] op_sel_hi:[1,0]
	v_pk_add_f32 v[136:137], v[136:137], v[140:141]
	v_pk_fma_f32 v[140:141], v[130:131], s[16:17], v[132:133] op_sel:[0,0,1] op_sel_hi:[1,0,0]
	v_pk_fma_f32 v[130:131], v[130:131], s[16:17], v[132:133] op_sel:[0,0,1] op_sel_hi:[1,0,0] neg_lo:[0,0,1] neg_hi:[0,0,1]
	v_mov_b32_e32 v132, v140
	v_mov_b32_e32 v133, v131
	v_pk_mul_f32 v[128:129], v[128:129], s[30:31] op_sel_hi:[1,0]
	v_pk_add_f32 v[132:133], v[132:133], v[136:137]
	v_pk_fma_f32 v[136:137], v[126:127], s[10:11], v[128:129] op_sel:[0,0,1] op_sel_hi:[1,0,0]
	v_pk_fma_f32 v[126:127], v[126:127], s[10:11], v[128:129] op_sel:[0,0,1] op_sel_hi:[1,0,0] neg_lo:[0,0,1] neg_hi:[0,0,1]
	v_mov_b32_e32 v128, v136
	v_mov_b32_e32 v129, v127
	;; [unrolled: 1-line block ×3, first 2 shown]
	v_pk_add_f32 v[128:129], v[128:129], v[132:133]
	v_mov_b32_e32 v143, v149
	v_pk_add_f32 v[132:133], v[20:21], v[146:147]
	v_mov_b32_e32 v139, v213
	;; [unrolled: 2-line block ×7, first 2 shown]
	ds_write2_b64 v236, v[128:129], v[126:127] offset0:6 offset1:7
	v_pk_add_f32 v[126:127], v[20:21], v[208:209]
	v_mov_b32_e32 v215, v217
	v_pk_add_f32 v[128:129], v[20:21], v[158:159]
	v_mov_b32_e32 v175, v197
	;; [unrolled: 2-line block ×10, first 2 shown]
	v_pk_add_f32 v[126:127], v[230:231], v[126:127]
	v_pk_add_f32 v[128:129], v[204:205], v[128:129]
	v_mov_b32_e32 v161, v173
	v_mov_b32_e32 v105, v103
	;; [unrolled: 1-line block ×3, first 2 shown]
	ds_write2_b64 v236, v[126:127], v[128:129] offset0:8 offset1:9
	v_pk_add_f32 v[126:127], v[20:21], v[160:161]
	v_mov_b32_e32 v163, v177
	v_pk_add_f32 v[102:103], v[20:21], v[104:105]
	v_mov_b32_e32 v109, v107
	v_pk_add_f32 v[20:21], v[20:21], v[24:25]
	v_mov_b32_e32 v29, v27
	v_pk_add_f32 v[126:127], v[162:163], v[126:127]
	v_mov_b32_e32 v165, v179
	v_pk_add_f32 v[102:103], v[108:109], v[102:103]
	v_mov_b32_e32 v113, v111
	v_pk_add_f32 v[20:21], v[28:29], v[20:21]
	v_mov_b32_e32 v33, v31
	v_pk_add_f32 v[126:127], v[164:165], v[126:127]
	v_mov_b32_e32 v167, v181
	v_pk_add_f32 v[102:103], v[112:113], v[102:103]
	v_mov_b32_e32 v117, v115
	v_pk_add_f32 v[20:21], v[32:33], v[20:21]
	v_mov_b32_e32 v37, v35
	v_pk_add_f32 v[126:127], v[166:167], v[126:127]
	v_mov_b32_e32 v169, v183
	v_pk_add_f32 v[102:103], v[116:117], v[102:103]
	v_mov_b32_e32 v121, v119
	v_pk_add_f32 v[20:21], v[36:37], v[20:21]
	v_mov_b32_e32 v41, v39
	v_pk_add_f32 v[126:127], v[168:169], v[126:127]
	v_mov_b32_e32 v171, v185
	v_pk_add_f32 v[102:103], v[120:121], v[102:103]
	v_mov_b32_e32 v125, v123
	v_pk_add_f32 v[20:21], v[40:41], v[20:21]
	v_mov_b32_e32 v55, v43
	v_pk_add_f32 v[126:127], v[170:171], v[126:127]
	v_pk_add_f32 v[102:103], v[124:125], v[102:103]
	;; [unrolled: 1-line block ×3, first 2 shown]
	ds_write2_b64 v236, v[126:127], v[102:103] offset0:10 offset1:11
	ds_write_b64 v236, v[20:21] offset:96
.LBB0_13:
	s_or_b64 exec, exec, s[0:1]
	s_waitcnt lgkmcnt(0)
	; wave barrier
	s_waitcnt lgkmcnt(0)
	ds_read2_b64 v[20:23], v45 offset0:104 offset1:130
	ds_read2_b64 v[24:27], v45 offset0:52 offset1:78
	;; [unrolled: 1-line block ×3, first 2 shown]
	v_add_u32_e32 v42, 0x800, v45
	ds_read2_b64 v[32:35], v42 offset0:4 offset1:30
	s_waitcnt lgkmcnt(3)
	v_pk_mul_f32 v[8:9], v[8:9], v[22:23]
	v_pk_mul_f32 v[4:5], v[4:5], v[20:21]
	v_pk_fma_f32 v[36:37], v[100:101], v[22:23], v[8:9] op_sel:[0,0,1] op_sel_hi:[1,1,0]
	v_pk_fma_f32 v[8:9], v[100:101], v[22:23], v[8:9] op_sel:[0,0,1] op_sel_hi:[1,1,0] neg_lo:[0,0,1] neg_hi:[0,0,1]
	v_pk_fma_f32 v[40:41], v[94:95], v[20:21], v[4:5] op_sel:[0,0,1] op_sel_hi:[1,1,0]
	v_mov_b32_e32 v37, v9
	s_waitcnt lgkmcnt(1)
	v_pk_mul_f32 v[8:9], v[10:11], v[28:29]
	v_pk_fma_f32 v[4:5], v[94:95], v[20:21], v[4:5] op_sel:[0,0,1] op_sel_hi:[1,1,0] neg_lo:[0,0,1] neg_hi:[0,0,1]
	v_pk_fma_f32 v[10:11], v[98:99], v[28:29], v[8:9] op_sel:[0,0,1] op_sel_hi:[1,1,0]
	v_pk_fma_f32 v[8:9], v[98:99], v[28:29], v[8:9] op_sel:[0,0,1] op_sel_hi:[1,1,0] neg_lo:[0,0,1] neg_hi:[0,0,1]
	v_mov_b32_e32 v41, v5
	v_mov_b32_e32 v11, v9
	s_waitcnt lgkmcnt(0)
	v_pk_mul_f32 v[8:9], v[52:53], v[34:35]
	v_pk_add_f32 v[28:29], v[24:25], v[10:11] neg_lo:[0,1] neg_hi:[0,1]
	v_pk_fma_f32 v[22:23], v[96:97], v[34:35], v[8:9] op_sel:[0,0,1] op_sel_hi:[1,1,0]
	v_pk_fma_f32 v[8:9], v[96:97], v[34:35], v[8:9] op_sel:[0,0,1] op_sel_hi:[1,1,0] neg_lo:[0,0,1] neg_hi:[0,0,1]
	v_pk_mul_f32 v[0:1], v[0:1], v[26:27]
	v_mov_b32_e32 v23, v9
	v_pk_add_f32 v[34:35], v[36:37], v[22:23] neg_lo:[0,1] neg_hi:[0,1]
	v_pk_fma_f32 v[8:9], v[24:25], 2.0, v[28:29] op_sel_hi:[1,0,1] neg_lo:[0,0,1] neg_hi:[0,0,1]
	v_pk_fma_f32 v[10:11], v[36:37], 2.0, v[34:35] op_sel_hi:[1,0,1] neg_lo:[0,0,1] neg_hi:[0,0,1]
	s_mov_b32 s0, 0x3f5db3d7
	v_pk_add_f32 v[36:37], v[8:9], v[10:11] neg_lo:[0,1] neg_hi:[0,1]
	s_nop 0
	v_pk_fma_f32 v[38:39], v[8:9], 2.0, v[36:37] op_sel_hi:[1,0,1] neg_lo:[0,0,1] neg_hi:[0,0,1]
	ds_read2_b64 v[8:11], v45 offset1:26
	ds_read2_b64 v[22:25], v45 offset0:156 offset1:182
	s_waitcnt lgkmcnt(0)
	; wave barrier
	s_waitcnt lgkmcnt(0)
	v_pk_mul_f32 v[4:5], v[6:7], v[24:25]
	s_nop 0
	v_pk_fma_f32 v[6:7], v[92:93], v[24:25], v[4:5] op_sel:[0,0,1] op_sel_hi:[1,1,0]
	v_pk_fma_f32 v[4:5], v[92:93], v[24:25], v[4:5] op_sel:[0,0,1] op_sel_hi:[1,1,0] neg_lo:[0,0,1] neg_hi:[0,0,1]
	v_pk_fma_f32 v[24:25], v[88:89], v[26:27], v[0:1] op_sel:[0,0,1] op_sel_hi:[1,1,0]
	v_pk_fma_f32 v[0:1], v[88:89], v[26:27], v[0:1] op_sel:[0,0,1] op_sel_hi:[1,1,0] neg_lo:[0,0,1] neg_hi:[0,0,1]
	v_mov_b32_e32 v7, v5
	v_mov_b32_e32 v25, v1
	v_pk_mul_f32 v[0:1], v[2:3], v[22:23]
	v_pk_mul_f32 v[4:5], v[50:51], v[32:33]
	v_pk_fma_f32 v[2:3], v[86:87], v[22:23], v[0:1] op_sel:[0,0,1] op_sel_hi:[1,1,0]
	v_pk_fma_f32 v[0:1], v[86:87], v[22:23], v[0:1] op_sel:[0,0,1] op_sel_hi:[1,1,0] neg_lo:[0,0,1] neg_hi:[0,0,1]
	v_pk_fma_f32 v[20:21], v[90:91], v[32:33], v[4:5] op_sel:[0,0,1] op_sel_hi:[1,1,0]
	v_mov_b32_e32 v3, v1
	v_pk_mul_f32 v[0:1], v[48:49], v[30:31]
	v_pk_fma_f32 v[4:5], v[90:91], v[32:33], v[4:5] op_sel:[0,0,1] op_sel_hi:[1,1,0] neg_lo:[0,0,1] neg_hi:[0,0,1]
	v_pk_fma_f32 v[22:23], v[84:85], v[30:31], v[0:1] op_sel:[0,0,1] op_sel_hi:[1,1,0]
	v_pk_fma_f32 v[0:1], v[84:85], v[30:31], v[0:1] op_sel:[0,0,1] op_sel_hi:[1,1,0] neg_lo:[0,0,1] neg_hi:[0,0,1]
	v_mov_b32_e32 v21, v5
	v_mov_b32_e32 v23, v1
	v_pk_add_f32 v[0:1], v[8:9], v[2:3] neg_lo:[0,1] neg_hi:[0,1]
	v_pk_add_f32 v[4:5], v[10:11], v[6:7] neg_lo:[0,1] neg_hi:[0,1]
	v_pk_fma_f32 v[2:3], v[8:9], 2.0, v[0:1] op_sel_hi:[1,0,1] neg_lo:[0,0,1] neg_hi:[0,0,1]
	v_pk_add_f32 v[8:9], v[24:25], v[22:23] neg_lo:[0,1] neg_hi:[0,1]
	v_pk_fma_f32 v[6:7], v[10:11], 2.0, v[4:5] op_sel_hi:[1,0,1] neg_lo:[0,0,1] neg_hi:[0,0,1]
	v_pk_fma_f32 v[22:23], v[24:25], 2.0, v[8:9] op_sel_hi:[1,0,1] neg_lo:[0,0,1] neg_hi:[0,0,1]
	v_pk_add_f32 v[24:25], v[0:1], v[8:9] op_sel:[0,1] op_sel_hi:[1,0]
	v_pk_add_f32 v[8:9], v[0:1], v[8:9] op_sel:[0,1] op_sel_hi:[1,0] neg_lo:[0,1] neg_hi:[0,1]
	v_pk_add_f32 v[22:23], v[2:3], v[22:23] neg_lo:[0,1] neg_hi:[0,1]
	v_mov_b32_e32 v25, v9
	v_pk_add_f32 v[10:11], v[40:41], v[20:21] neg_lo:[0,1] neg_hi:[0,1]
	v_pk_fma_f32 v[2:3], v[2:3], 2.0, v[22:23] op_sel_hi:[1,0,1] neg_lo:[0,0,1] neg_hi:[0,0,1]
	v_pk_fma_f32 v[0:1], v[0:1], 2.0, v[24:25] op_sel_hi:[1,0,1] neg_lo:[0,0,1] neg_hi:[0,0,1]
	;; [unrolled: 1-line block ×3, first 2 shown]
	ds_write2_b64 v154, v[2:3], v[0:1] offset1:13
	ds_write2_b64 v154, v[22:23], v[24:25] offset0:26 offset1:39
	v_pk_add_f32 v[0:1], v[4:5], v[10:11] op_sel:[0,1] op_sel_hi:[1,0]
	v_pk_add_f32 v[2:3], v[4:5], v[10:11] op_sel:[0,1] op_sel_hi:[1,0] neg_lo:[0,1] neg_hi:[0,1]
	v_pk_add_f32 v[20:21], v[6:7], v[20:21] neg_lo:[0,1] neg_hi:[0,1]
	v_mov_b32_e32 v1, v3
	v_pk_fma_f32 v[6:7], v[6:7], 2.0, v[20:21] op_sel_hi:[1,0,1] neg_lo:[0,0,1] neg_hi:[0,0,1]
	v_pk_fma_f32 v[2:3], v[4:5], 2.0, v[0:1] op_sel_hi:[1,0,1] neg_lo:[0,0,1] neg_hi:[0,0,1]
	ds_write2_b64 v153, v[6:7], v[2:3] offset1:13
	ds_write2_b64 v153, v[20:21], v[0:1] offset0:26 offset1:39
	v_pk_add_f32 v[0:1], v[28:29], v[34:35] op_sel:[0,1] op_sel_hi:[1,0]
	v_pk_add_f32 v[2:3], v[28:29], v[34:35] op_sel:[0,1] op_sel_hi:[1,0] neg_lo:[0,1] neg_hi:[0,1]
	s_nop 0
	v_mov_b32_e32 v1, v3
	v_pk_fma_f32 v[2:3], v[28:29], 2.0, v[0:1] op_sel_hi:[1,0,1] neg_lo:[0,0,1] neg_hi:[0,0,1]
	ds_write2_b64 v152, v[38:39], v[2:3] offset1:13
	ds_write2_b64 v152, v[36:37], v[0:1] offset0:26 offset1:39
	s_waitcnt lgkmcnt(0)
	; wave barrier
	s_waitcnt lgkmcnt(0)
	ds_read2_b64 v[0:3], v45 offset0:104 offset1:130
	ds_read2_b64 v[4:7], v45 offset1:26
	ds_read2_b64 v[8:11], v45 offset0:208 offset1:234
	s_waitcnt lgkmcnt(2)
	v_pk_mul_f32 v[20:21], v[12:13], v[0:1]
	s_nop 0
	v_pk_fma_f32 v[22:23], v[78:79], v[0:1], v[20:21] op_sel:[0,0,1] op_sel_hi:[1,1,0]
	v_pk_fma_f32 v[0:1], v[78:79], v[0:1], v[20:21] op_sel:[0,0,1] op_sel_hi:[1,1,0] neg_lo:[0,0,1] neg_hi:[0,0,1]
	s_nop 0
	v_mov_b32_e32 v23, v1
	s_waitcnt lgkmcnt(0)
	v_pk_mul_f32 v[0:1], v[14:15], v[8:9]
	s_nop 0
	v_pk_fma_f32 v[20:21], v[76:77], v[8:9], v[0:1] op_sel:[0,0,1] op_sel_hi:[1,1,0]
	v_pk_fma_f32 v[0:1], v[76:77], v[8:9], v[0:1] op_sel:[0,0,1] op_sel_hi:[1,1,0] neg_lo:[0,0,1] neg_hi:[0,0,1]
	s_nop 0
	v_mov_b32_e32 v21, v1
	v_pk_add_f32 v[0:1], v[4:5], v[22:23]
	s_nop 0
	v_pk_add_f32 v[24:25], v[0:1], v[20:21]
	v_pk_mul_f32 v[0:1], v[16:17], v[2:3]
	s_nop 0
	v_pk_fma_f32 v[8:9], v[82:83], v[2:3], v[0:1] op_sel:[0,0,1] op_sel_hi:[1,1,0]
	v_pk_fma_f32 v[0:1], v[82:83], v[2:3], v[0:1] op_sel:[0,0,1] op_sel_hi:[1,1,0] neg_lo:[0,0,1] neg_hi:[0,0,1]
	s_nop 0
	v_mov_b32_e32 v9, v1
	v_pk_mul_f32 v[0:1], v[18:19], v[10:11]
	s_nop 0
	v_pk_fma_f32 v[2:3], v[80:81], v[10:11], v[0:1] op_sel:[0,0,1] op_sel_hi:[1,1,0]
	v_pk_fma_f32 v[0:1], v[80:81], v[10:11], v[0:1] op_sel:[0,0,1] op_sel_hi:[1,1,0] neg_lo:[0,0,1] neg_hi:[0,0,1]
	s_nop 0
	v_mov_b32_e32 v3, v1
	v_pk_add_f32 v[0:1], v[6:7], v[8:9]
	s_nop 0
	v_pk_add_f32 v[26:27], v[0:1], v[2:3]
	v_pk_add_f32 v[0:1], v[22:23], v[20:21]
	s_nop 0
	v_pk_fma_f32 v[0:1], v[0:1], 0.5, v[4:5] op_sel_hi:[1,0,1] neg_lo:[1,0,0] neg_hi:[1,0,0]
	v_pk_add_f32 v[4:5], v[22:23], v[20:21] neg_lo:[0,1] neg_hi:[0,1]
	s_nop 0
	v_pk_mul_f32 v[4:5], v[4:5], s[0:1] op_sel_hi:[1,0]
	s_nop 0
	v_pk_add_f32 v[20:21], v[0:1], v[4:5] op_sel:[0,1] op_sel_hi:[1,0] neg_lo:[0,1] neg_hi:[0,1]
	v_pk_add_f32 v[22:23], v[0:1], v[4:5] op_sel:[0,1] op_sel_hi:[1,0]
	v_pk_add_f32 v[0:1], v[8:9], v[2:3]
	s_nop 0
	v_pk_fma_f32 v[4:5], v[0:1], 0.5, v[6:7] op_sel_hi:[1,0,1] neg_lo:[1,0,0] neg_hi:[1,0,0]
	v_pk_add_f32 v[0:1], v[8:9], v[2:3] neg_lo:[0,1] neg_hi:[0,1]
	s_nop 0
	v_pk_mul_f32 v[6:7], v[0:1], s[0:1] op_sel_hi:[1,0]
	ds_read2_b64 v[0:3], v45 offset0:156 offset1:182
	v_pk_add_f32 v[28:29], v[4:5], v[6:7] op_sel:[0,1] op_sel_hi:[1,0] neg_lo:[0,1] neg_hi:[0,1]
	v_pk_add_f32 v[30:31], v[4:5], v[6:7] op_sel:[0,1] op_sel_hi:[1,0]
	ds_read2_b64 v[4:7], v45 offset0:52 offset1:78
	ds_read2_b64 v[8:11], v42 offset0:4 offset1:30
	s_waitcnt lgkmcnt(0)
	v_pk_mul_f32 v[16:17], v[16:17], v[2:3]
	; wave barrier
	s_nop 0
	v_pk_fma_f32 v[32:33], v[82:83], v[2:3], v[16:17] op_sel:[0,0,1] op_sel_hi:[1,1,0]
	v_pk_fma_f32 v[2:3], v[82:83], v[2:3], v[16:17] op_sel:[0,0,1] op_sel_hi:[1,1,0] neg_lo:[0,0,1] neg_hi:[0,0,1]
	ds_write2_b64 v45, v[24:25], v[26:27] offset1:26
	v_mov_b32_e32 v33, v3
	v_pk_mul_f32 v[2:3], v[18:19], v[10:11]
	s_nop 0
	v_pk_fma_f32 v[16:17], v[80:81], v[10:11], v[2:3] op_sel:[0,0,1] op_sel_hi:[1,1,0]
	v_pk_fma_f32 v[2:3], v[80:81], v[10:11], v[2:3] op_sel:[0,0,1] op_sel_hi:[1,1,0] neg_lo:[0,0,1] neg_hi:[0,0,1]
	s_nop 0
	v_mov_b32_e32 v17, v3
	v_pk_add_f32 v[2:3], v[32:33], v[16:17]
	v_pk_add_f32 v[10:11], v[32:33], v[16:17] neg_lo:[0,1] neg_hi:[0,1]
	v_pk_fma_f32 v[2:3], v[2:3], 0.5, v[6:7] op_sel_hi:[1,0,1] neg_lo:[1,0,0] neg_hi:[1,0,0]
	v_pk_mul_f32 v[10:11], v[10:11], s[0:1] op_sel_hi:[1,0]
	s_nop 0
	v_pk_add_f32 v[18:19], v[2:3], v[10:11] op_sel:[0,1] op_sel_hi:[1,0]
	v_pk_add_f32 v[2:3], v[2:3], v[10:11] op_sel:[0,1] op_sel_hi:[1,0] neg_lo:[0,1] neg_hi:[0,1]
	v_pk_mul_f32 v[10:11], v[12:13], v[0:1]
	s_nop 0
	v_pk_fma_f32 v[12:13], v[78:79], v[0:1], v[10:11] op_sel:[0,0,1] op_sel_hi:[1,1,0]
	v_pk_fma_f32 v[0:1], v[78:79], v[0:1], v[10:11] op_sel:[0,0,1] op_sel_hi:[1,1,0] neg_lo:[0,0,1] neg_hi:[0,0,1]
	s_nop 0
	v_mov_b32_e32 v13, v1
	v_pk_mul_f32 v[0:1], v[14:15], v[8:9]
	s_nop 0
	v_pk_fma_f32 v[10:11], v[76:77], v[8:9], v[0:1] op_sel:[0,0,1] op_sel_hi:[1,1,0]
	v_pk_fma_f32 v[0:1], v[76:77], v[8:9], v[0:1] op_sel:[0,0,1] op_sel_hi:[1,1,0] neg_lo:[0,0,1] neg_hi:[0,0,1]
	s_nop 0
	v_mov_b32_e32 v11, v1
	v_pk_add_f32 v[0:1], v[12:13], v[10:11]
	v_pk_add_f32 v[8:9], v[12:13], v[10:11] neg_lo:[0,1] neg_hi:[0,1]
	v_pk_fma_f32 v[0:1], v[0:1], 0.5, v[4:5] op_sel_hi:[1,0,1] neg_lo:[1,0,0] neg_hi:[1,0,0]
	v_pk_mul_f32 v[8:9], v[8:9], s[0:1] op_sel_hi:[1,0]
	v_pk_add_f32 v[4:5], v[4:5], v[12:13]
	v_pk_add_f32 v[14:15], v[0:1], v[8:9] op_sel:[0,1] op_sel_hi:[1,0]
	v_pk_add_f32 v[0:1], v[0:1], v[8:9] op_sel:[0,1] op_sel_hi:[1,0] neg_lo:[0,1] neg_hi:[0,1]
	v_mov_b32_e32 v8, v20
	v_mov_b32_e32 v9, v23
	;; [unrolled: 1-line block ×5, first 2 shown]
	ds_write2_b64 v45, v[8:9], v[20:21] offset0:52 offset1:78
	v_mov_b32_e32 v8, v0
	v_mov_b32_e32 v9, v15
	;; [unrolled: 1-line block ×3, first 2 shown]
	v_pk_add_f32 v[0:1], v[6:7], v[32:33]
	v_pk_add_f32 v[4:5], v[4:5], v[10:11]
	;; [unrolled: 1-line block ×3, first 2 shown]
	v_mov_b32_e32 v31, v29
	ds_write2_b64 v45, v[4:5], v[0:1] offset0:156 offset1:182
	v_mov_b32_e32 v0, v2
	v_mov_b32_e32 v1, v19
	;; [unrolled: 1-line block ×3, first 2 shown]
	ds_write2_b64 v45, v[22:23], v[30:31] offset0:104 offset1:130
	ds_write2_b64 v45, v[8:9], v[0:1] offset0:208 offset1:234
	;; [unrolled: 1-line block ×3, first 2 shown]
	s_waitcnt lgkmcnt(0)
	; wave barrier
	s_waitcnt lgkmcnt(0)
	ds_read2_b64 v[0:3], v45 offset0:208 offset1:234
	ds_read2_b64 v[4:7], v45 offset0:52 offset1:78
	s_waitcnt lgkmcnt(1)
	v_pk_mul_f32 v[8:9], v[66:67], v[2:3]
	s_nop 0
	v_pk_fma_f32 v[12:13], v[74:75], v[2:3], v[8:9] op_sel:[0,0,1] op_sel_hi:[1,1,0]
	v_pk_fma_f32 v[2:3], v[74:75], v[2:3], v[8:9] op_sel:[0,0,1] op_sel_hi:[1,1,0] neg_lo:[0,0,1] neg_hi:[0,0,1]
	ds_read2_b64 v[8:11], v45 offset0:156 offset1:182
	v_mov_b32_e32 v13, v3
	s_waitcnt lgkmcnt(1)
	v_pk_add_f32 v[16:17], v[6:7], v[12:13] neg_lo:[0,1] neg_hi:[0,1]
	ds_read2_b64 v[12:15], v45 offset1:26
	v_pk_fma_f32 v[18:19], v[6:7], 2.0, v[16:17] op_sel_hi:[1,0,1] neg_lo:[0,0,1] neg_hi:[0,0,1]
	s_waitcnt lgkmcnt(1)
	v_pk_mul_f32 v[2:3], v[64:65], v[8:9]
	s_nop 0
	v_pk_fma_f32 v[6:7], v[72:73], v[8:9], v[2:3] op_sel:[0,0,1] op_sel_hi:[1,1,0]
	v_pk_fma_f32 v[2:3], v[72:73], v[8:9], v[2:3] op_sel:[0,0,1] op_sel_hi:[1,1,0] neg_lo:[0,0,1] neg_hi:[0,0,1]
	s_nop 0
	v_mov_b32_e32 v7, v3
	v_pk_mul_f32 v[2:3], v[60:61], v[10:11] op_sel:[1,0]
	s_waitcnt lgkmcnt(0)
	v_pk_add_f32 v[8:9], v[12:13], v[6:7] neg_lo:[0,1] neg_hi:[0,1]
	v_pk_fma_f32 v[6:7], v[60:61], v[10:11], v[2:3] op_sel:[0,0,1] op_sel_hi:[1,1,0]
	v_pk_fma_f32 v[2:3], v[60:61], v[10:11], v[2:3] op_sel:[0,0,1] op_sel_hi:[0,1,0] neg_lo:[0,0,1] neg_hi:[0,0,1]
	v_mov_b32_e32 v7, v3
	v_pk_mul_f32 v[2:3], v[62:63], v[0:1] op_sel:[1,0]
	v_pk_add_f32 v[10:11], v[14:15], v[6:7] neg_lo:[0,1] neg_hi:[0,1]
	v_pk_fma_f32 v[6:7], v[62:63], v[0:1], v[2:3] op_sel:[0,0,1] op_sel_hi:[1,1,0]
	v_pk_fma_f32 v[20:21], v[62:63], v[0:1], v[2:3] op_sel:[0,0,1] op_sel_hi:[0,1,0] neg_lo:[0,0,1] neg_hi:[0,0,1]
	ds_read2_b64 v[0:3], v42 offset0:4 offset1:30
	v_mov_b32_e32 v7, v21
	v_pk_add_f32 v[20:21], v[4:5], v[6:7] neg_lo:[0,1] neg_hi:[0,1]
	v_pk_fma_f32 v[12:13], v[12:13], 2.0, v[8:9] op_sel_hi:[1,0,1] neg_lo:[0,0,1] neg_hi:[0,0,1]
	v_pk_fma_f32 v[22:23], v[4:5], 2.0, v[20:21] op_sel_hi:[1,0,1] neg_lo:[0,0,1] neg_hi:[0,0,1]
	ds_read2_b64 v[4:7], v45 offset0:104 offset1:130
	s_waitcnt lgkmcnt(1)
	v_pk_mul_f32 v[24:25], v[58:59], v[0:1]
	v_pk_fma_f32 v[14:15], v[14:15], 2.0, v[10:11] op_sel_hi:[1,0,1] neg_lo:[0,0,1] neg_hi:[0,0,1]
	v_pk_fma_f32 v[26:27], v[70:71], v[0:1], v[24:25] op_sel:[0,0,1] op_sel_hi:[1,1,0]
	v_pk_fma_f32 v[0:1], v[70:71], v[0:1], v[24:25] op_sel:[0,0,1] op_sel_hi:[1,1,0] neg_lo:[0,0,1] neg_hi:[0,0,1]
	v_pk_mul_f32 v[24:25], v[56:57], v[2:3]
	v_mov_b32_e32 v27, v1
	s_waitcnt lgkmcnt(0)
	v_pk_add_f32 v[0:1], v[4:5], v[26:27] neg_lo:[0,1] neg_hi:[0,1]
	v_pk_fma_f32 v[26:27], v[68:69], v[2:3], v[24:25] op_sel:[0,0,1] op_sel_hi:[1,1,0]
	v_pk_fma_f32 v[2:3], v[68:69], v[2:3], v[24:25] op_sel:[0,0,1] op_sel_hi:[1,1,0] neg_lo:[0,0,1] neg_hi:[0,0,1]
	v_pk_fma_f32 v[4:5], v[4:5], 2.0, v[0:1] op_sel_hi:[1,0,1] neg_lo:[0,0,1] neg_hi:[0,0,1]
	v_mov_b32_e32 v27, v3
	v_pk_add_f32 v[2:3], v[6:7], v[26:27] neg_lo:[0,1] neg_hi:[0,1]
	s_nop 0
	v_pk_fma_f32 v[6:7], v[6:7], 2.0, v[2:3] op_sel_hi:[1,0,1] neg_lo:[0,0,1] neg_hi:[0,0,1]
	ds_write2_b64 v155, v[12:13], v[14:15] offset1:26
	ds_write2_b64 v155, v[8:9], v[10:11] offset0:156 offset1:182
	ds_write2_b64 v155, v[22:23], v[18:19] offset0:52 offset1:78
	;; [unrolled: 1-line block ×3, first 2 shown]
	ds_write_b64 v155, v[4:5] offset:832
	ds_write_b64 v157, v[0:1] offset:1248
	;; [unrolled: 1-line block ×4, first 2 shown]
	s_waitcnt lgkmcnt(0)
	; wave barrier
	s_waitcnt lgkmcnt(0)
	s_and_b64 exec, exec, vcc
	s_cbranch_execz .LBB0_15
; %bb.14:
	global_load_dwordx2 v[10:11], v47, s[2:3]
	global_load_dwordx2 v[12:13], v47, s[2:3] offset:192
	global_load_dwordx2 v[14:15], v47, s[2:3] offset:384
	;; [unrolled: 1-line block ×4, first 2 shown]
	ds_read_b64 v[22:23], v155
	global_load_dwordx2 v[26:27], v47, s[2:3] offset:960
	global_load_dwordx2 v[28:29], v47, s[2:3] offset:1152
	;; [unrolled: 1-line block ×3, first 2 shown]
	v_lshl_add_u32 v36, v150, 3, v151
	ds_read2_b64 v[2:5], v36 offset0:24 offset1:48
	ds_read2_b64 v[6:9], v36 offset0:72 offset1:96
	v_mad_u64_u32 v[20:21], s[0:1], s6, v46, 0
	s_mov_b32 s0, 0x1a41a41a
	v_mov_b32_e32 v0, s8
	v_mov_b32_e32 v1, s9
	s_mov_b32 s1, 0x3f6a41a4
	v_mad_u64_u32 v[24:25], s[8:9], s4, v44, 0
	v_mov_b32_e32 v32, v21
	v_mov_b32_e32 v34, v25
	v_mad_u64_u32 v[32:33], s[8:9], s7, v46, v[32:33]
	v_mad_u64_u32 v[34:35], s[8:9], s5, v44, v[34:35]
	v_mov_b32_e32 v21, v32
	v_mov_b32_e32 v25, v34
	v_lshl_add_u64 v[0:1], v[20:21], 3, v[0:1]
	v_mov_b32_e32 v37, 0xc0
	v_lshl_add_u64 v[20:21], v[24:25], 3, v[0:1]
	s_mul_i32 s6, s5, 0xc0
	v_mad_u64_u32 v[24:25], s[8:9], s4, v37, v[20:21]
	v_add_u32_e32 v25, s6, v25
	v_mad_u64_u32 v[32:33], s[8:9], s4, v37, v[24:25]
	v_add_u32_e32 v33, s6, v33
	;; [unrolled: 2-line block ×3, first 2 shown]
	s_mul_i32 s7, s5, 0x180
	s_waitcnt vmcnt(7) lgkmcnt(2)
	v_mul_f32_e32 v38, v23, v11
	v_mul_f32_e32 v11, v22, v11
	s_waitcnt vmcnt(6) lgkmcnt(1)
	v_mul_f32_e32 v39, v3, v13
	v_mul_f32_e32 v13, v2, v13
	s_waitcnt vmcnt(5)
	v_mul_f32_e32 v40, v5, v15
	v_mul_f32_e32 v15, v4, v15
	s_waitcnt vmcnt(4) lgkmcnt(0)
	v_mul_f32_e32 v41, v7, v17
	v_mul_f32_e32 v17, v6, v17
	v_fmac_f32_e32 v38, v22, v10
	v_fma_f32 v10, v10, v23, -v11
	v_fmac_f32_e32 v39, v2, v12
	v_fma_f32 v11, v12, v3, -v13
	;; [unrolled: 2-line block ×4, first 2 shown]
	v_cvt_f64_f32_e32 v[2:3], v38
	v_cvt_f64_f32_e32 v[4:5], v10
	;; [unrolled: 1-line block ×3, first 2 shown]
	v_mul_f64 v[2:3], v[2:3], s[0:1]
	v_mul_f64 v[4:5], v[4:5], s[0:1]
	;; [unrolled: 1-line block ×3, first 2 shown]
	v_cvt_f32_f64_e32 v2, v[2:3]
	v_cvt_f32_f64_e32 v3, v[4:5]
	;; [unrolled: 1-line block ×3, first 2 shown]
	global_load_dwordx2 v[6:7], v47, s[2:3] offset:1536
	v_cvt_f64_f32_e32 v[10:11], v11
	v_cvt_f64_f32_e32 v[12:13], v40
	;; [unrolled: 1-line block ×5, first 2 shown]
	v_mul_f64 v[10:11], v[10:11], s[0:1]
	v_mul_f64 v[12:13], v[12:13], s[0:1]
	;; [unrolled: 1-line block ×5, first 2 shown]
	v_cvt_f32_f64_e32 v5, v[10:11]
	v_cvt_f32_f64_e32 v10, v[12:13]
	;; [unrolled: 1-line block ×5, first 2 shown]
	global_store_dwordx2 v[20:21], v[2:3], off
	global_store_dwordx2 v[24:25], v[4:5], off
	;; [unrolled: 1-line block ×4, first 2 shown]
	s_waitcnt vmcnt(8)
	v_mul_f32_e32 v2, v9, v19
	v_fmac_f32_e32 v2, v8, v18
	v_cvt_f64_f32_e32 v[2:3], v2
	v_mul_f64 v[2:3], v[2:3], s[0:1]
	v_or_b32_e32 v15, 0x60, v44
	v_cvt_f32_f64_e32 v10, v[2:3]
	v_mul_f32_e32 v2, v8, v19
	v_fma_f32 v2, v18, v9, -v2
	global_load_dwordx2 v[8:9], v47, s[2:3] offset:1728
	v_mad_u64_u32 v[12:13], s[8:9], s4, v15, 0
	v_mov_b32_e32 v14, v13
	v_cvt_f64_f32_e32 v[2:3], v2
	v_mad_u64_u32 v[14:15], s[8:9], s5, v15, v[14:15]
	v_mul_f64 v[2:3], v[2:3], s[0:1]
	v_mov_b32_e32 v13, v14
	v_cvt_f32_f64_e32 v11, v[2:3]
	v_lshl_add_u64 v[12:13], v[12:13], 3, v[0:1]
	global_store_dwordx2 v[12:13], v[10:11], off
	global_load_dwordx2 v[10:11], v47, s[2:3] offset:1920
	ds_read2_b64 v[2:5], v36 offset0:120 offset1:144
	v_mov_b32_e32 v22, 0x180
	v_mad_u64_u32 v[14:15], s[8:9], s4, v22, v[34:35]
	v_add_u32_e32 v15, s7, v15
	s_waitcnt vmcnt(10) lgkmcnt(0)
	v_mul_f32_e32 v12, v3, v27
	v_fmac_f32_e32 v12, v2, v26
	v_mul_f32_e32 v2, v2, v27
	v_fma_f32 v2, v26, v3, -v2
	v_cvt_f64_f32_e32 v[12:13], v12
	v_cvt_f64_f32_e32 v[2:3], v2
	v_mul_f64 v[12:13], v[12:13], s[0:1]
	v_mul_f64 v[2:3], v[2:3], s[0:1]
	v_cvt_f32_f64_e32 v12, v[12:13]
	v_cvt_f32_f64_e32 v13, v[2:3]
	s_waitcnt vmcnt(9)
	v_mul_f32_e32 v2, v5, v29
	v_fmac_f32_e32 v2, v4, v28
	global_store_dwordx2 v[14:15], v[12:13], off
	global_load_dwordx2 v[12:13], v47, s[2:3] offset:2112
	v_cvt_f64_f32_e32 v[2:3], v2
	v_mul_f64 v[2:3], v[2:3], s[0:1]
	v_cvt_f32_f64_e32 v16, v[2:3]
	v_mul_f32_e32 v2, v4, v29
	v_fma_f32 v2, v28, v5, -v2
	v_cvt_f64_f32_e32 v[2:3], v2
	v_mul_f64 v[2:3], v[2:3], s[0:1]
	v_mad_u64_u32 v[14:15], s[8:9], s4, v37, v[14:15]
	v_cvt_f32_f64_e32 v17, v[2:3]
	v_add_u32_e32 v15, s6, v15
	global_store_dwordx2 v[14:15], v[16:17], off
	global_load_dwordx2 v[16:17], v47, s[2:3] offset:2304
	ds_read2_b64 v[2:5], v36 offset0:168 offset1:192
	v_mad_u64_u32 v[14:15], s[2:3], s4, v37, v[14:15]
	v_add_u32_e32 v15, s6, v15
	v_or_b32_e32 v21, 0xc0, v44
	s_waitcnt vmcnt(12) lgkmcnt(0)
	v_mul_f32_e32 v18, v3, v31
	v_fmac_f32_e32 v18, v2, v30
	v_mul_f32_e32 v2, v2, v31
	v_fma_f32 v2, v30, v3, -v2
	v_cvt_f64_f32_e32 v[18:19], v18
	v_cvt_f64_f32_e32 v[2:3], v2
	v_mul_f64 v[18:19], v[18:19], s[0:1]
	v_mul_f64 v[2:3], v[2:3], s[0:1]
	v_cvt_f32_f64_e32 v18, v[18:19]
	v_cvt_f32_f64_e32 v19, v[2:3]
	s_waitcnt vmcnt(11)
	v_mul_f32_e32 v2, v5, v7
	v_fmac_f32_e32 v2, v4, v6
	v_cvt_f64_f32_e32 v[2:3], v2
	v_mul_f64 v[2:3], v[2:3], s[0:1]
	global_store_dwordx2 v[14:15], v[18:19], off
	v_cvt_f32_f64_e32 v18, v[2:3]
	v_mul_f32_e32 v2, v4, v7
	v_fma_f32 v2, v6, v5, -v2
	v_cvt_f64_f32_e32 v[2:3], v2
	v_mul_f64 v[2:3], v[2:3], s[0:1]
	v_cvt_f32_f64_e32 v19, v[2:3]
	v_mad_u64_u32 v[6:7], s[2:3], s4, v21, 0
	ds_read2_b64 v[2:5], v36 offset0:216 offset1:240
	v_mov_b32_e32 v20, v7
	v_mad_u64_u32 v[20:21], s[2:3], s5, v21, v[20:21]
	v_mov_b32_e32 v7, v20
	v_lshl_add_u64 v[6:7], v[6:7], 3, v[0:1]
	global_store_dwordx2 v[6:7], v[18:19], off
	s_waitcnt vmcnt(8) lgkmcnt(0)
	v_mul_f32_e32 v6, v3, v9
	v_fmac_f32_e32 v6, v2, v8
	v_mul_f32_e32 v2, v2, v9
	v_fma_f32 v2, v8, v3, -v2
	v_cvt_f64_f32_e32 v[6:7], v6
	v_cvt_f64_f32_e32 v[2:3], v2
	v_mul_f64 v[6:7], v[6:7], s[0:1]
	v_mul_f64 v[2:3], v[2:3], s[0:1]
	v_cvt_f32_f64_e32 v6, v[6:7]
	v_cvt_f32_f64_e32 v7, v[2:3]
	v_mad_u64_u32 v[8:9], s[2:3], s4, v22, v[14:15]
	s_waitcnt vmcnt(6)
	v_mul_f32_e32 v2, v5, v11
	v_fmac_f32_e32 v2, v4, v10
	v_cvt_f64_f32_e32 v[2:3], v2
	v_add_u32_e32 v9, s7, v9
	v_mul_f64 v[2:3], v[2:3], s[0:1]
	global_store_dwordx2 v[8:9], v[6:7], off
	v_cvt_f32_f64_e32 v6, v[2:3]
	v_mul_f32_e32 v2, v4, v11
	v_fma_f32 v2, v10, v5, -v2
	v_cvt_f64_f32_e32 v[2:3], v2
	v_mul_f64 v[2:3], v[2:3], s[0:1]
	v_cvt_f32_f64_e32 v7, v[2:3]
	v_add_u32_e32 v2, 0x800, v36
	ds_read2_b64 v[2:5], v2 offset0:8 offset1:32
	v_mad_u64_u32 v[8:9], s[2:3], s4, v37, v[8:9]
	v_add_u32_e32 v9, s6, v9
	global_store_dwordx2 v[8:9], v[6:7], off
	s_waitcnt vmcnt(6) lgkmcnt(0)
	v_mul_f32_e32 v6, v3, v13
	v_fmac_f32_e32 v6, v2, v12
	v_mul_f32_e32 v2, v2, v13
	v_fma_f32 v2, v12, v3, -v2
	v_cvt_f64_f32_e32 v[6:7], v6
	v_cvt_f64_f32_e32 v[2:3], v2
	v_mul_f64 v[6:7], v[6:7], s[0:1]
	v_mul_f64 v[2:3], v[2:3], s[0:1]
	v_cvt_f32_f64_e32 v6, v[6:7]
	v_cvt_f32_f64_e32 v7, v[2:3]
	v_mad_u64_u32 v[2:3], s[2:3], s4, v37, v[8:9]
	v_add_u32_e32 v3, s6, v3
	global_store_dwordx2 v[2:3], v[6:7], off
	s_waitcnt vmcnt(5)
	v_mul_f32_e32 v2, v5, v17
	v_fmac_f32_e32 v2, v4, v16
	v_cvt_f64_f32_e32 v[2:3], v2
	v_mul_f64 v[2:3], v[2:3], s[0:1]
	v_cvt_f32_f64_e32 v2, v[2:3]
	v_mul_f32_e32 v3, v4, v17
	v_fma_f32 v3, v16, v5, -v3
	v_cvt_f64_f32_e32 v[4:5], v3
	v_or_b32_e32 v7, 0x120, v44
	v_mul_f64 v[4:5], v[4:5], s[0:1]
	v_cvt_f32_f64_e32 v3, v[4:5]
	v_mad_u64_u32 v[4:5], s[0:1], s4, v7, 0
	v_mov_b32_e32 v6, v5
	v_mad_u64_u32 v[6:7], s[0:1], s5, v7, v[6:7]
	v_mov_b32_e32 v5, v6
	v_lshl_add_u64 v[0:1], v[4:5], 3, v[0:1]
	global_store_dwordx2 v[0:1], v[2:3], off
.LBB0_15:
	s_endpgm
	.section	.rodata,"a",@progbits
	.p2align	6, 0x0
	.amdhsa_kernel bluestein_single_fwd_len312_dim1_sp_op_CI_CI
		.amdhsa_group_segment_fixed_size 4992
		.amdhsa_private_segment_fixed_size 0
		.amdhsa_kernarg_size 104
		.amdhsa_user_sgpr_count 2
		.amdhsa_user_sgpr_dispatch_ptr 0
		.amdhsa_user_sgpr_queue_ptr 0
		.amdhsa_user_sgpr_kernarg_segment_ptr 1
		.amdhsa_user_sgpr_dispatch_id 0
		.amdhsa_user_sgpr_kernarg_preload_length 0
		.amdhsa_user_sgpr_kernarg_preload_offset 0
		.amdhsa_user_sgpr_private_segment_size 0
		.amdhsa_uses_dynamic_stack 0
		.amdhsa_enable_private_segment 0
		.amdhsa_system_sgpr_workgroup_id_x 1
		.amdhsa_system_sgpr_workgroup_id_y 0
		.amdhsa_system_sgpr_workgroup_id_z 0
		.amdhsa_system_sgpr_workgroup_info 0
		.amdhsa_system_vgpr_workitem_id 0
		.amdhsa_next_free_vgpr 237
		.amdhsa_next_free_sgpr 42
		.amdhsa_accum_offset 240
		.amdhsa_reserve_vcc 1
		.amdhsa_float_round_mode_32 0
		.amdhsa_float_round_mode_16_64 0
		.amdhsa_float_denorm_mode_32 3
		.amdhsa_float_denorm_mode_16_64 3
		.amdhsa_dx10_clamp 1
		.amdhsa_ieee_mode 1
		.amdhsa_fp16_overflow 0
		.amdhsa_tg_split 0
		.amdhsa_exception_fp_ieee_invalid_op 0
		.amdhsa_exception_fp_denorm_src 0
		.amdhsa_exception_fp_ieee_div_zero 0
		.amdhsa_exception_fp_ieee_overflow 0
		.amdhsa_exception_fp_ieee_underflow 0
		.amdhsa_exception_fp_ieee_inexact 0
		.amdhsa_exception_int_div_zero 0
	.end_amdhsa_kernel
	.text
.Lfunc_end0:
	.size	bluestein_single_fwd_len312_dim1_sp_op_CI_CI, .Lfunc_end0-bluestein_single_fwd_len312_dim1_sp_op_CI_CI
                                        ; -- End function
	.section	.AMDGPU.csdata,"",@progbits
; Kernel info:
; codeLenInByte = 11828
; NumSgprs: 48
; NumVgprs: 237
; NumAgprs: 0
; TotalNumVgprs: 237
; ScratchSize: 0
; MemoryBound: 0
; FloatMode: 240
; IeeeMode: 1
; LDSByteSize: 4992 bytes/workgroup (compile time only)
; SGPRBlocks: 5
; VGPRBlocks: 29
; NumSGPRsForWavesPerEU: 48
; NumVGPRsForWavesPerEU: 237
; AccumOffset: 240
; Occupancy: 2
; WaveLimiterHint : 1
; COMPUTE_PGM_RSRC2:SCRATCH_EN: 0
; COMPUTE_PGM_RSRC2:USER_SGPR: 2
; COMPUTE_PGM_RSRC2:TRAP_HANDLER: 0
; COMPUTE_PGM_RSRC2:TGID_X_EN: 1
; COMPUTE_PGM_RSRC2:TGID_Y_EN: 0
; COMPUTE_PGM_RSRC2:TGID_Z_EN: 0
; COMPUTE_PGM_RSRC2:TIDIG_COMP_CNT: 0
; COMPUTE_PGM_RSRC3_GFX90A:ACCUM_OFFSET: 59
; COMPUTE_PGM_RSRC3_GFX90A:TG_SPLIT: 0
	.text
	.p2alignl 6, 3212836864
	.fill 256, 4, 3212836864
	.type	__hip_cuid_a568850663aa2a20,@object ; @__hip_cuid_a568850663aa2a20
	.section	.bss,"aw",@nobits
	.globl	__hip_cuid_a568850663aa2a20
__hip_cuid_a568850663aa2a20:
	.byte	0                               ; 0x0
	.size	__hip_cuid_a568850663aa2a20, 1

	.ident	"AMD clang version 19.0.0git (https://github.com/RadeonOpenCompute/llvm-project roc-6.4.0 25133 c7fe45cf4b819c5991fe208aaa96edf142730f1d)"
	.section	".note.GNU-stack","",@progbits
	.addrsig
	.addrsig_sym __hip_cuid_a568850663aa2a20
	.amdgpu_metadata
---
amdhsa.kernels:
  - .agpr_count:     0
    .args:
      - .actual_access:  read_only
        .address_space:  global
        .offset:         0
        .size:           8
        .value_kind:     global_buffer
      - .actual_access:  read_only
        .address_space:  global
        .offset:         8
        .size:           8
        .value_kind:     global_buffer
      - .actual_access:  read_only
        .address_space:  global
        .offset:         16
        .size:           8
        .value_kind:     global_buffer
      - .actual_access:  read_only
        .address_space:  global
        .offset:         24
        .size:           8
        .value_kind:     global_buffer
      - .actual_access:  read_only
        .address_space:  global
        .offset:         32
        .size:           8
        .value_kind:     global_buffer
      - .offset:         40
        .size:           8
        .value_kind:     by_value
      - .address_space:  global
        .offset:         48
        .size:           8
        .value_kind:     global_buffer
      - .address_space:  global
        .offset:         56
        .size:           8
        .value_kind:     global_buffer
      - .address_space:  global
        .offset:         64
        .size:           8
        .value_kind:     global_buffer
      - .address_space:  global
        .offset:         72
        .size:           8
        .value_kind:     global_buffer
      - .offset:         80
        .size:           4
        .value_kind:     by_value
      - .address_space:  global
        .offset:         88
        .size:           8
        .value_kind:     global_buffer
      - .address_space:  global
        .offset:         96
        .size:           8
        .value_kind:     global_buffer
    .group_segment_fixed_size: 4992
    .kernarg_segment_align: 8
    .kernarg_segment_size: 104
    .language:       OpenCL C
    .language_version:
      - 2
      - 0
    .max_flat_workgroup_size: 52
    .name:           bluestein_single_fwd_len312_dim1_sp_op_CI_CI
    .private_segment_fixed_size: 0
    .sgpr_count:     48
    .sgpr_spill_count: 0
    .symbol:         bluestein_single_fwd_len312_dim1_sp_op_CI_CI.kd
    .uniform_work_group_size: 1
    .uses_dynamic_stack: false
    .vgpr_count:     237
    .vgpr_spill_count: 0
    .wavefront_size: 64
amdhsa.target:   amdgcn-amd-amdhsa--gfx950
amdhsa.version:
  - 1
  - 2
...

	.end_amdgpu_metadata
